;; amdgpu-corpus repo=ROCm/rocFFT kind=compiled arch=gfx906 opt=O3
	.text
	.amdgcn_target "amdgcn-amd-amdhsa--gfx906"
	.amdhsa_code_object_version 6
	.protected	fft_rtc_back_len3375_factors_5_5_5_3_3_3_wgs_225_tpt_225_halfLds_half_ip_CI_unitstride_sbrr_dirReg ; -- Begin function fft_rtc_back_len3375_factors_5_5_5_3_3_3_wgs_225_tpt_225_halfLds_half_ip_CI_unitstride_sbrr_dirReg
	.globl	fft_rtc_back_len3375_factors_5_5_5_3_3_3_wgs_225_tpt_225_halfLds_half_ip_CI_unitstride_sbrr_dirReg
	.p2align	8
	.type	fft_rtc_back_len3375_factors_5_5_5_3_3_3_wgs_225_tpt_225_halfLds_half_ip_CI_unitstride_sbrr_dirReg,@function
fft_rtc_back_len3375_factors_5_5_5_3_3_3_wgs_225_tpt_225_halfLds_half_ip_CI_unitstride_sbrr_dirReg: ; @fft_rtc_back_len3375_factors_5_5_5_3_3_3_wgs_225_tpt_225_halfLds_half_ip_CI_unitstride_sbrr_dirReg
; %bb.0:
	s_load_dwordx2 s[2:3], s[4:5], 0x50
	s_load_dwordx4 s[8:11], s[4:5], 0x0
	s_load_dwordx2 s[12:13], s[4:5], 0x18
	v_mul_u32_u24_e32 v1, 0x124, v0
	v_add_u32_sdwa v5, s6, v1 dst_sel:DWORD dst_unused:UNUSED_PAD src0_sel:DWORD src1_sel:WORD_1
	v_mov_b32_e32 v3, 0
	s_waitcnt lgkmcnt(0)
	v_cmp_lt_u64_e64 s[0:1], s[10:11], 2
	v_mov_b32_e32 v1, 0
	v_mov_b32_e32 v6, v3
	s_and_b64 vcc, exec, s[0:1]
	v_mov_b32_e32 v2, 0
	s_cbranch_vccnz .LBB0_8
; %bb.1:
	s_load_dwordx2 s[0:1], s[4:5], 0x10
	s_add_u32 s6, s12, 8
	s_addc_u32 s7, s13, 0
	v_mov_b32_e32 v1, 0
	v_mov_b32_e32 v2, 0
	s_waitcnt lgkmcnt(0)
	s_add_u32 s14, s0, 8
	s_addc_u32 s15, s1, 0
	s_mov_b64 s[16:17], 1
.LBB0_2:                                ; =>This Inner Loop Header: Depth=1
	s_load_dwordx2 s[18:19], s[14:15], 0x0
                                        ; implicit-def: $vgpr7_vgpr8
	s_waitcnt lgkmcnt(0)
	v_or_b32_e32 v4, s19, v6
	v_cmp_ne_u64_e32 vcc, 0, v[3:4]
	s_and_saveexec_b64 s[0:1], vcc
	s_xor_b64 s[20:21], exec, s[0:1]
	s_cbranch_execz .LBB0_4
; %bb.3:                                ;   in Loop: Header=BB0_2 Depth=1
	v_cvt_f32_u32_e32 v4, s18
	v_cvt_f32_u32_e32 v7, s19
	s_sub_u32 s0, 0, s18
	s_subb_u32 s1, 0, s19
	v_mac_f32_e32 v4, 0x4f800000, v7
	v_rcp_f32_e32 v4, v4
	v_mul_f32_e32 v4, 0x5f7ffffc, v4
	v_mul_f32_e32 v7, 0x2f800000, v4
	v_trunc_f32_e32 v7, v7
	v_mac_f32_e32 v4, 0xcf800000, v7
	v_cvt_u32_f32_e32 v7, v7
	v_cvt_u32_f32_e32 v4, v4
	v_mul_lo_u32 v8, s0, v7
	v_mul_hi_u32 v9, s0, v4
	v_mul_lo_u32 v11, s1, v4
	v_mul_lo_u32 v10, s0, v4
	v_add_u32_e32 v8, v9, v8
	v_add_u32_e32 v8, v8, v11
	v_mul_hi_u32 v9, v4, v10
	v_mul_lo_u32 v11, v4, v8
	v_mul_hi_u32 v13, v4, v8
	v_mul_hi_u32 v12, v7, v10
	v_mul_lo_u32 v10, v7, v10
	v_mul_hi_u32 v14, v7, v8
	v_add_co_u32_e32 v9, vcc, v9, v11
	v_addc_co_u32_e32 v11, vcc, 0, v13, vcc
	v_mul_lo_u32 v8, v7, v8
	v_add_co_u32_e32 v9, vcc, v9, v10
	v_addc_co_u32_e32 v9, vcc, v11, v12, vcc
	v_addc_co_u32_e32 v10, vcc, 0, v14, vcc
	v_add_co_u32_e32 v8, vcc, v9, v8
	v_addc_co_u32_e32 v9, vcc, 0, v10, vcc
	v_add_co_u32_e32 v4, vcc, v4, v8
	v_addc_co_u32_e32 v7, vcc, v7, v9, vcc
	v_mul_lo_u32 v8, s0, v7
	v_mul_hi_u32 v9, s0, v4
	v_mul_lo_u32 v10, s1, v4
	v_mul_lo_u32 v11, s0, v4
	v_add_u32_e32 v8, v9, v8
	v_add_u32_e32 v8, v8, v10
	v_mul_lo_u32 v12, v4, v8
	v_mul_hi_u32 v13, v4, v11
	v_mul_hi_u32 v14, v4, v8
	;; [unrolled: 1-line block ×3, first 2 shown]
	v_mul_lo_u32 v11, v7, v11
	v_mul_hi_u32 v9, v7, v8
	v_add_co_u32_e32 v12, vcc, v13, v12
	v_addc_co_u32_e32 v13, vcc, 0, v14, vcc
	v_mul_lo_u32 v8, v7, v8
	v_add_co_u32_e32 v11, vcc, v12, v11
	v_addc_co_u32_e32 v10, vcc, v13, v10, vcc
	v_addc_co_u32_e32 v9, vcc, 0, v9, vcc
	v_add_co_u32_e32 v8, vcc, v10, v8
	v_addc_co_u32_e32 v9, vcc, 0, v9, vcc
	v_add_co_u32_e32 v4, vcc, v4, v8
	v_addc_co_u32_e32 v9, vcc, v7, v9, vcc
	v_mad_u64_u32 v[7:8], s[0:1], v5, v9, 0
	v_mul_hi_u32 v10, v5, v4
	v_add_co_u32_e32 v11, vcc, v10, v7
	v_addc_co_u32_e32 v12, vcc, 0, v8, vcc
	v_mad_u64_u32 v[7:8], s[0:1], v6, v4, 0
	v_mad_u64_u32 v[9:10], s[0:1], v6, v9, 0
	v_add_co_u32_e32 v4, vcc, v11, v7
	v_addc_co_u32_e32 v4, vcc, v12, v8, vcc
	v_addc_co_u32_e32 v7, vcc, 0, v10, vcc
	v_add_co_u32_e32 v4, vcc, v4, v9
	v_addc_co_u32_e32 v9, vcc, 0, v7, vcc
	v_mul_lo_u32 v10, s19, v4
	v_mul_lo_u32 v11, s18, v9
	v_mad_u64_u32 v[7:8], s[0:1], s18, v4, 0
	v_add3_u32 v8, v8, v11, v10
	v_sub_u32_e32 v10, v6, v8
	v_mov_b32_e32 v11, s19
	v_sub_co_u32_e32 v7, vcc, v5, v7
	v_subb_co_u32_e64 v10, s[0:1], v10, v11, vcc
	v_subrev_co_u32_e64 v11, s[0:1], s18, v7
	v_subbrev_co_u32_e64 v10, s[0:1], 0, v10, s[0:1]
	v_cmp_le_u32_e64 s[0:1], s19, v10
	v_cndmask_b32_e64 v12, 0, -1, s[0:1]
	v_cmp_le_u32_e64 s[0:1], s18, v11
	v_cndmask_b32_e64 v11, 0, -1, s[0:1]
	v_cmp_eq_u32_e64 s[0:1], s19, v10
	v_cndmask_b32_e64 v10, v12, v11, s[0:1]
	v_add_co_u32_e64 v11, s[0:1], 2, v4
	v_addc_co_u32_e64 v12, s[0:1], 0, v9, s[0:1]
	v_add_co_u32_e64 v13, s[0:1], 1, v4
	v_addc_co_u32_e64 v14, s[0:1], 0, v9, s[0:1]
	v_subb_co_u32_e32 v8, vcc, v6, v8, vcc
	v_cmp_ne_u32_e64 s[0:1], 0, v10
	v_cmp_le_u32_e32 vcc, s19, v8
	v_cndmask_b32_e64 v10, v14, v12, s[0:1]
	v_cndmask_b32_e64 v12, 0, -1, vcc
	v_cmp_le_u32_e32 vcc, s18, v7
	v_cndmask_b32_e64 v7, 0, -1, vcc
	v_cmp_eq_u32_e32 vcc, s19, v8
	v_cndmask_b32_e32 v7, v12, v7, vcc
	v_cmp_ne_u32_e32 vcc, 0, v7
	v_cndmask_b32_e64 v7, v13, v11, s[0:1]
	v_cndmask_b32_e32 v8, v9, v10, vcc
	v_cndmask_b32_e32 v7, v4, v7, vcc
.LBB0_4:                                ;   in Loop: Header=BB0_2 Depth=1
	s_andn2_saveexec_b64 s[0:1], s[20:21]
	s_cbranch_execz .LBB0_6
; %bb.5:                                ;   in Loop: Header=BB0_2 Depth=1
	v_cvt_f32_u32_e32 v4, s18
	s_sub_i32 s20, 0, s18
	v_rcp_iflag_f32_e32 v4, v4
	v_mul_f32_e32 v4, 0x4f7ffffe, v4
	v_cvt_u32_f32_e32 v4, v4
	v_mul_lo_u32 v7, s20, v4
	v_mul_hi_u32 v7, v4, v7
	v_add_u32_e32 v4, v4, v7
	v_mul_hi_u32 v4, v5, v4
	v_mul_lo_u32 v7, v4, s18
	v_add_u32_e32 v8, 1, v4
	v_sub_u32_e32 v7, v5, v7
	v_subrev_u32_e32 v9, s18, v7
	v_cmp_le_u32_e32 vcc, s18, v7
	v_cndmask_b32_e32 v7, v7, v9, vcc
	v_cndmask_b32_e32 v4, v4, v8, vcc
	v_add_u32_e32 v8, 1, v4
	v_cmp_le_u32_e32 vcc, s18, v7
	v_cndmask_b32_e32 v7, v4, v8, vcc
	v_mov_b32_e32 v8, v3
.LBB0_6:                                ;   in Loop: Header=BB0_2 Depth=1
	s_or_b64 exec, exec, s[0:1]
	v_mul_lo_u32 v4, v8, s18
	v_mul_lo_u32 v11, v7, s19
	v_mad_u64_u32 v[9:10], s[0:1], v7, s18, 0
	s_load_dwordx2 s[0:1], s[6:7], 0x0
	s_add_u32 s16, s16, 1
	v_add3_u32 v4, v10, v11, v4
	v_sub_co_u32_e32 v5, vcc, v5, v9
	v_subb_co_u32_e32 v4, vcc, v6, v4, vcc
	s_waitcnt lgkmcnt(0)
	v_mul_lo_u32 v4, s0, v4
	v_mul_lo_u32 v6, s1, v5
	v_mad_u64_u32 v[1:2], s[0:1], s0, v5, v[1:2]
	s_addc_u32 s17, s17, 0
	s_add_u32 s6, s6, 8
	v_add3_u32 v2, v6, v2, v4
	v_mov_b32_e32 v4, s10
	v_mov_b32_e32 v5, s11
	s_addc_u32 s7, s7, 0
	v_cmp_ge_u64_e32 vcc, s[16:17], v[4:5]
	s_add_u32 s14, s14, 8
	s_addc_u32 s15, s15, 0
	s_cbranch_vccnz .LBB0_9
; %bb.7:                                ;   in Loop: Header=BB0_2 Depth=1
	v_mov_b32_e32 v5, v7
	v_mov_b32_e32 v6, v8
	s_branch .LBB0_2
.LBB0_8:
	v_mov_b32_e32 v8, v6
	v_mov_b32_e32 v7, v5
.LBB0_9:
	s_lshl_b64 s[0:1], s[10:11], 3
	s_add_u32 s0, s12, s0
	s_addc_u32 s1, s13, s1
	s_load_dwordx2 s[6:7], s[0:1], 0x0
	s_load_dwordx2 s[10:11], s[4:5], 0x20
                                        ; implicit-def: $vgpr9
                                        ; implicit-def: $vgpr11
                                        ; implicit-def: $vgpr10
                                        ; implicit-def: $vgpr12
                                        ; implicit-def: $vgpr17
                                        ; implicit-def: $vgpr21
                                        ; implicit-def: $vgpr18
                                        ; implicit-def: $vgpr14
                                        ; implicit-def: $vgpr20
                                        ; implicit-def: $vgpr15
                                        ; implicit-def: $vgpr19
                                        ; implicit-def: $vgpr13
                                        ; implicit-def: $vgpr22
                                        ; implicit-def: $vgpr16
                                        ; implicit-def: $vgpr27
                                        ; implicit-def: $vgpr23
                                        ; implicit-def: $vgpr28
                                        ; implicit-def: $vgpr25
                                        ; implicit-def: $vgpr31
                                        ; implicit-def: $vgpr26
                                        ; implicit-def: $vgpr30
                                        ; implicit-def: $vgpr24
                                        ; implicit-def: $vgpr32
                                        ; implicit-def: $vgpr29
	s_waitcnt lgkmcnt(0)
	v_mad_u64_u32 v[1:2], s[0:1], s6, v7, v[1:2]
	v_mul_lo_u32 v3, s6, v8
	v_mul_lo_u32 v4, s7, v7
	s_mov_b32 s0, 0x1234568
	v_mul_hi_u32 v5, v0, s0
	v_cmp_gt_u64_e64 s[0:1], s[10:11], v[7:8]
	v_add3_u32 v2, v4, v2, v3
	v_lshlrev_b64 v[6:7], 2, v[1:2]
	v_mul_u32_u24_e32 v3, 0xe1, v5
	v_sub_u32_e32 v4, v0, v3
                                        ; implicit-def: $vgpr1
                                        ; implicit-def: $vgpr3
                                        ; implicit-def: $vgpr2
                                        ; implicit-def: $vgpr5
                                        ; implicit-def: $vgpr0
                                        ; implicit-def: $vgpr8
	s_and_saveexec_b64 s[4:5], s[0:1]
	s_cbranch_execz .LBB0_11
; %bb.10:
	v_mov_b32_e32 v5, 0
	v_mov_b32_e32 v0, s3
	v_add_co_u32_e32 v2, vcc, s2, v6
	v_addc_co_u32_e32 v3, vcc, v0, v7, vcc
	v_lshlrev_b64 v[0:1], 2, v[4:5]
	s_movk_i32 s6, 0x1000
	v_add_co_u32_e32 v2, vcc, v2, v0
	v_addc_co_u32_e32 v3, vcc, v3, v1, vcc
	v_add_co_u32_e32 v17, vcc, s6, v2
	v_addc_co_u32_e32 v18, vcc, 0, v3, vcc
	s_movk_i32 s6, 0x2000
	v_add_co_u32_e32 v19, vcc, s6, v2
	v_addc_co_u32_e32 v20, vcc, 0, v3, vcc
	v_add_co_u32_e32 v1, vcc, 0x3000, v2
	global_load_dword v23, v[19:20], off offset:2608
	global_load_dword v29, v[2:3], off
	global_load_dword v16, v[2:3], off offset:900
	global_load_dword v24, v[2:3], off offset:2700
	;; [unrolled: 1-line block ×9, first 2 shown]
	v_addc_co_u32_e32 v2, vcc, 0, v3, vcc
	global_load_dword v21, v[19:20], off offset:3508
	global_load_dword v3, v[1:2], off offset:312
	;; [unrolled: 1-line block ×4, first 2 shown]
	s_waitcnt vmcnt(14)
	v_lshrrev_b32_e32 v27, 16, v23
	s_waitcnt vmcnt(13)
	v_lshrrev_b32_e32 v32, 16, v29
	;; [unrolled: 2-line block ×11, first 2 shown]
	v_lshrrev_b32_e32 v12, 16, v8
	s_waitcnt vmcnt(1)
	v_lshrrev_b32_e32 v2, 16, v9
	s_waitcnt vmcnt(0)
	v_lshrrev_b32_e32 v5, 16, v11
	v_lshrrev_b32_e32 v1, 16, v3
.LBB0_11:
	s_or_b64 exec, exec, s[4:5]
	v_add_f16_e32 v33, v25, v26
	v_fma_f16 v33, v33, -0.5, v29
	v_sub_f16_e32 v34, v30, v27
	s_mov_b32 s4, 0xbb9c
	v_sub_f16_e32 v36, v24, v26
	v_sub_f16_e32 v37, v23, v25
	s_movk_i32 s7, 0x3b9c
	v_fma_f16 v35, v34, s4, v33
	v_add_f16_e32 v36, v37, v36
	v_sub_f16_e32 v37, v31, v28
	s_mov_b32 s5, 0xb8b4
	v_fma_f16 v33, v34, s7, v33
	s_movk_i32 s10, 0x38b4
	v_fma_f16 v35, v37, s5, v35
	s_movk_i32 s6, 0x34f2
	v_fma_f16 v33, v37, s10, v33
	v_fma_f16 v35, v36, s6, v35
	;; [unrolled: 1-line block ×3, first 2 shown]
	v_sub_f16_e32 v36, v26, v24
	v_sub_f16_e32 v38, v25, v23
	v_add_f16_e32 v36, v38, v36
	v_add_f16_e32 v38, v23, v24
	v_fma_f16 v38, v38, -0.5, v29
	v_add_f16_e32 v29, v24, v29
	v_add_f16_e32 v29, v26, v29
	;; [unrolled: 1-line block ×4, first 2 shown]
	v_sub_f16_e32 v23, v24, v23
	v_sub_f16_e32 v24, v26, v25
	;; [unrolled: 1-line block ×4, first 2 shown]
	v_add_f16_e32 v25, v26, v25
	v_add_f16_e32 v26, v28, v31
	v_fma_f16 v39, v37, s7, v38
	v_fma_f16 v37, v37, s4, v38
	v_fma_f16 v26, v26, -0.5, v32
	v_fma_f16 v38, v34, s5, v39
	v_fma_f16 v34, v34, s10, v37
	;; [unrolled: 1-line block ×7, first 2 shown]
	v_add_f16_e32 v26, v30, v32
	v_fma_f16 v37, v25, s6, v37
	v_add_f16_e32 v25, v27, v30
	v_add_f16_e32 v26, v31, v26
	v_fma_f16 v25, v25, -0.5, v32
	v_add_f16_e32 v26, v28, v26
	v_sub_f16_e32 v30, v31, v30
	v_add_f16_e32 v32, v27, v26
	v_sub_f16_e32 v26, v28, v27
	v_fma_f16 v27, v24, s4, v25
	v_fma_f16 v24, v24, s7, v25
	;; [unrolled: 1-line block ×3, first 2 shown]
	v_add_f16_e32 v26, v26, v30
	v_fma_f16 v23, v23, s5, v24
	v_fma_f16 v41, v26, s6, v23
	v_add_f16_e32 v23, v14, v15
	v_fma_f16 v40, v26, s6, v27
	v_fma_f16 v23, v23, -0.5, v16
	v_sub_f16_e32 v24, v19, v17
	v_sub_f16_e32 v25, v13, v15
	;; [unrolled: 1-line block ×3, first 2 shown]
	v_add_f16_e32 v25, v26, v25
	v_fma_f16 v26, v24, s4, v23
	v_sub_f16_e32 v27, v20, v18
	v_fma_f16 v23, v24, s7, v23
	v_fma_f16 v26, v27, s5, v26
	v_fma_f16 v23, v27, s10, v23
	v_fma_f16 v26, v25, s6, v26
	v_fma_f16 v23, v25, s6, v23
	v_sub_f16_e32 v25, v15, v13
	v_sub_f16_e32 v28, v14, v21
	v_add_f16_e32 v25, v28, v25
	v_add_f16_e32 v28, v21, v13
	v_fma_f16 v28, v28, -0.5, v16
	v_add_f16_e32 v16, v13, v16
	v_add_f16_e32 v16, v15, v16
	;; [unrolled: 1-line block ×4, first 2 shown]
	v_sub_f16_e32 v13, v13, v21
	v_sub_f16_e32 v14, v15, v14
	;; [unrolled: 1-line block ×4, first 2 shown]
	v_add_f16_e32 v15, v21, v15
	v_add_f16_e32 v21, v18, v20
	v_fma_f16 v30, v27, s7, v28
	v_fma_f16 v27, v27, s4, v28
	v_fma_f16 v21, v21, -0.5, v22
	v_fma_f16 v28, v24, s5, v30
	v_fma_f16 v24, v24, s10, v27
	;; [unrolled: 1-line block ×8, first 2 shown]
	v_add_f16_e32 v21, v17, v19
	v_fma_f16 v21, v21, -0.5, v22
	v_add_f16_e32 v22, v19, v22
	v_add_f16_e32 v22, v20, v22
	v_sub_f16_e32 v19, v20, v19
	v_add_f16_e32 v20, v18, v22
	v_add_f16_e32 v43, v17, v20
	v_sub_f16_e32 v17, v18, v17
	v_fma_f16 v18, v14, s4, v21
	v_fma_f16 v14, v14, s7, v21
	v_add_f16_e32 v17, v17, v19
	v_fma_f16 v18, v13, s10, v18
	v_fma_f16 v13, v13, s5, v14
	;; [unrolled: 1-line block ×4, first 2 shown]
	v_add_f16_e32 v14, v9, v11
	v_sub_f16_e32 v17, v0, v11
	v_sub_f16_e32 v19, v3, v9
	v_fma_f16 v14, v14, -0.5, v8
	v_add_f16_e32 v17, v19, v17
	v_sub_f16_e32 v19, v10, v1
	v_fma_f16 v20, v19, s4, v14
	v_sub_f16_e32 v21, v5, v2
	v_fma_f16 v14, v19, s7, v14
	v_fma_f16 v20, v21, s5, v20
	;; [unrolled: 1-line block ×5, first 2 shown]
	v_sub_f16_e32 v17, v11, v0
	v_sub_f16_e32 v22, v9, v3
	v_add_f16_e32 v17, v22, v17
	v_add_f16_e32 v22, v3, v0
	v_fma_f16 v22, v22, -0.5, v8
	v_add_f16_e32 v8, v0, v8
	v_add_f16_e32 v8, v11, v8
	;; [unrolled: 1-line block ×4, first 2 shown]
	v_sub_f16_e32 v0, v0, v3
	v_sub_f16_e32 v3, v11, v9
	;; [unrolled: 1-line block ×4, first 2 shown]
	v_add_f16_e32 v9, v11, v9
	v_add_f16_e32 v11, v2, v5
	v_fma_f16 v27, v21, s7, v22
	v_fma_f16 v21, v21, s4, v22
	v_fma_f16 v11, v11, -0.5, v12
	v_fma_f16 v22, v19, s5, v27
	v_fma_f16 v19, v19, s10, v21
	;; [unrolled: 1-line block ×8, first 2 shown]
	v_add_f16_e32 v9, v1, v10
	v_fma_f16 v9, v9, -0.5, v12
	v_add_f16_e32 v12, v10, v12
	v_add_f16_e32 v12, v5, v12
	v_sub_f16_e32 v5, v5, v10
	v_add_f16_e32 v10, v2, v12
	v_add_f16_e32 v10, v1, v10
	v_sub_f16_e32 v1, v2, v1
	v_fma_f16 v2, v3, s4, v9
	v_fma_f16 v3, v3, s7, v9
	v_add_f16_e32 v1, v1, v5
	v_fma_f16 v2, v0, s10, v2
	v_fma_f16 v0, v0, s5, v3
	v_mul_f16_e32 v5, 0x34f2, v36
	v_fma_f16 v3, v1, s6, v0
	v_pack_b32_f16 v0, v38, v34
	v_fma_f16 v2, v1, s6, v2
	v_mad_u32_u24 v36, v4, 10, 0
	v_pk_add_f16 v1, v5, v0 op_sel_hi:[0,1]
	v_pack_b32_f16 v0, v29, v35
	v_mul_f16_e32 v9, 0x34f2, v25
	ds_write_b64 v36, v[0:1]
	ds_write_b16 v36, v33 offset:8
	v_pack_b32_f16 v0, v28, v24
	v_pk_add_f16 v1, v9, v0 op_sel_hi:[0,1]
	v_pack_b32_f16 v0, v16, v26
	v_mul_f16_e32 v12, 0x34f2, v17
	ds_write_b64 v36, v[0:1] offset:2250
	ds_write_b16 v36, v23 offset:2258
	v_pack_b32_f16 v0, v22, v19
	v_pk_add_f16 v1, v12, v0 op_sel_hi:[0,1]
	v_pack_b32_f16 v0, v8, v20
	ds_write_b64 v36, v[0:1] offset:4500
	ds_write_b16 v36, v14 offset:4508
	v_lshlrev_b32_e32 v0, 3, v4
	v_sub_u32_e32 v5, v36, v0
	v_pack_b32_f16 v1, v40, v41
	v_pack_b32_f16 v0, v32, v37
	s_waitcnt lgkmcnt(0)
	s_barrier
	ds_read_u16 v17, v5
	ds_read_u16 v16, v5 offset:450
	ds_read_u16 v25, v5 offset:1800
	;; [unrolled: 1-line block ×14, first 2 shown]
	s_waitcnt lgkmcnt(0)
	s_barrier
	ds_write_b64 v36, v[0:1]
	ds_write_b16 v36, v39 offset:8
	v_pack_b32_f16 v1, v18, v13
	v_pack_b32_f16 v0, v43, v42
	ds_write_b64 v36, v[0:1] offset:2250
	ds_write_b16 v36, v15 offset:2258
	v_pack_b32_f16 v1, v2, v3
	v_pack_b32_f16 v0, v10, v44
	s_movk_i32 s11, 0xcd
	ds_write_b64 v36, v[0:1] offset:4500
	ds_write_b16 v36, v11 offset:4508
	v_mul_lo_u16_sdwa v0, v4, s11 dst_sel:DWORD dst_unused:UNUSED_PAD src0_sel:BYTE_0 src1_sel:DWORD
	v_lshrrev_b16_e32 v12, 10, v0
	v_mul_lo_u16_e32 v0, 5, v12
	v_sub_u16_e32 v13, v4, v0
	v_mov_b32_e32 v8, 4
	v_lshlrev_b32_sdwa v0, v8, v13 dst_sel:DWORD dst_unused:UNUSED_PAD src0_sel:DWORD src1_sel:BYTE_0
	s_waitcnt lgkmcnt(0)
	s_barrier
	global_load_dwordx4 v[0:3], v0, s[8:9]
	v_add_u32_e32 v10, 0xe1, v4
	s_mov_b32 s11, 0xcccd
	v_mul_u32_u24_sdwa v11, v10, s11 dst_sel:DWORD dst_unused:UNUSED_PAD src0_sel:WORD_0 src1_sel:DWORD
	v_lshrrev_b32_e32 v14, 18, v11
	v_mul_lo_u16_e32 v11, 5, v14
	v_sub_u16_e32 v15, v10, v11
	v_lshlrev_b32_e32 v11, 4, v15
	global_load_dwordx4 v[32:35], v11, s[8:9]
	v_add_u32_e32 v11, 0x1c2, v4
	v_mul_u32_u24_sdwa v18, v11, s11 dst_sel:DWORD dst_unused:UNUSED_PAD src0_sel:WORD_0 src1_sel:DWORD
	v_lshrrev_b32_e32 v18, 18, v18
	v_mul_lo_u16_e32 v19, 5, v18
	v_sub_u16_e32 v19, v11, v19
	v_lshlrev_b32_e32 v36, 4, v19
	global_load_dwordx4 v[36:39], v36, s[8:9]
	ds_read_u16 v40, v5 offset:1350
	ds_read_u16 v41, v5 offset:1800
	;; [unrolled: 1-line block ×5, first 2 shown]
	ds_read_u16 v45, v5
	ds_read_u16 v46, v5 offset:450
	ds_read_u16 v47, v5 offset:900
	v_mul_u32_u24_e32 v12, 50, v12
	s_movk_i32 s11, 0x47af
	s_waitcnt vmcnt(2) lgkmcnt(7)
	v_mul_f16_sdwa v48, v40, v0 dst_sel:DWORD dst_unused:UNUSED_PAD src0_sel:DWORD src1_sel:WORD_1
	v_fma_f16 v48, v31, v0, v48
	v_mul_f16_sdwa v31, v31, v0 dst_sel:DWORD dst_unused:UNUSED_PAD src0_sel:DWORD src1_sel:WORD_1
	v_fma_f16 v0, v40, v0, -v31
	s_waitcnt lgkmcnt(4)
	v_mul_f16_sdwa v31, v43, v1 dst_sel:DWORD dst_unused:UNUSED_PAD src0_sel:DWORD src1_sel:WORD_1
	v_fma_f16 v31, v28, v1, v31
	v_mul_f16_sdwa v28, v28, v1 dst_sel:DWORD dst_unused:UNUSED_PAD src0_sel:DWORD src1_sel:WORD_1
	v_fma_f16 v1, v43, v1, -v28
	ds_read_u16 v28, v5 offset:4050
	ds_read_u16 v40, v5 offset:4500
	;; [unrolled: 1-line block ×7, first 2 shown]
	s_waitcnt lgkmcnt(6)
	v_mul_f16_sdwa v53, v28, v2 dst_sel:DWORD dst_unused:UNUSED_PAD src0_sel:DWORD src1_sel:WORD_1
	v_fma_f16 v53, v30, v2, v53
	v_mul_f16_sdwa v30, v30, v2 dst_sel:DWORD dst_unused:UNUSED_PAD src0_sel:DWORD src1_sel:WORD_1
	v_fma_f16 v2, v28, v2, -v30
	s_waitcnt lgkmcnt(2)
	v_mul_f16_sdwa v28, v50, v3 dst_sel:DWORD dst_unused:UNUSED_PAD src0_sel:DWORD src1_sel:WORD_1
	v_fma_f16 v28, v29, v3, v28
	v_mul_f16_sdwa v29, v29, v3 dst_sel:DWORD dst_unused:UNUSED_PAD src0_sel:DWORD src1_sel:WORD_1
	v_fma_f16 v3, v50, v3, -v29
	s_waitcnt vmcnt(1)
	v_mul_f16_sdwa v29, v41, v32 dst_sel:DWORD dst_unused:UNUSED_PAD src0_sel:DWORD src1_sel:WORD_1
	v_mul_f16_sdwa v30, v42, v33 dst_sel:DWORD dst_unused:UNUSED_PAD src0_sel:DWORD src1_sel:WORD_1
	v_fma_f16 v29, v25, v32, v29
	v_mul_f16_sdwa v25, v25, v32 dst_sel:DWORD dst_unused:UNUSED_PAD src0_sel:DWORD src1_sel:WORD_1
	v_fma_f16 v30, v23, v33, v30
	v_mul_f16_sdwa v23, v23, v33 dst_sel:DWORD dst_unused:UNUSED_PAD src0_sel:DWORD src1_sel:WORD_1
	v_fma_f16 v25, v41, v32, -v25
	v_fma_f16 v23, v42, v33, -v23
	v_mul_f16_sdwa v32, v40, v34 dst_sel:DWORD dst_unused:UNUSED_PAD src0_sel:DWORD src1_sel:WORD_1
	v_mul_f16_sdwa v33, v43, v35 dst_sel:DWORD dst_unused:UNUSED_PAD src0_sel:DWORD src1_sel:WORD_1
	v_fma_f16 v32, v22, v34, v32
	v_mul_f16_sdwa v22, v22, v34 dst_sel:DWORD dst_unused:UNUSED_PAD src0_sel:DWORD src1_sel:WORD_1
	v_fma_f16 v33, v26, v35, v33
	v_mul_f16_sdwa v26, v26, v35 dst_sel:DWORD dst_unused:UNUSED_PAD src0_sel:DWORD src1_sel:WORD_1
	v_fma_f16 v22, v40, v34, -v22
	v_fma_f16 v26, v43, v35, -v26
	s_waitcnt vmcnt(0)
	v_mul_f16_sdwa v34, v44, v36 dst_sel:DWORD dst_unused:UNUSED_PAD src0_sel:DWORD src1_sel:WORD_1
	s_waitcnt lgkmcnt(0)
	v_mul_f16_sdwa v35, v52, v37 dst_sel:DWORD dst_unused:UNUSED_PAD src0_sel:DWORD src1_sel:WORD_1
	v_fma_f16 v34, v21, v36, v34
	v_mul_f16_sdwa v21, v21, v36 dst_sel:DWORD dst_unused:UNUSED_PAD src0_sel:DWORD src1_sel:WORD_1
	v_fma_f16 v35, v27, v37, v35
	v_mul_f16_sdwa v27, v27, v37 dst_sel:DWORD dst_unused:UNUSED_PAD src0_sel:DWORD src1_sel:WORD_1
	v_fma_f16 v21, v44, v36, -v21
	v_fma_f16 v27, v52, v37, -v27
	v_mul_f16_sdwa v36, v51, v38 dst_sel:DWORD dst_unused:UNUSED_PAD src0_sel:DWORD src1_sel:WORD_1
	v_mul_f16_sdwa v37, v49, v39 dst_sel:DWORD dst_unused:UNUSED_PAD src0_sel:DWORD src1_sel:WORD_1
	v_fma_f16 v36, v24, v38, v36
	v_mul_f16_sdwa v24, v24, v38 dst_sel:DWORD dst_unused:UNUSED_PAD src0_sel:DWORD src1_sel:WORD_1
	v_fma_f16 v37, v20, v39, v37
	v_mul_f16_sdwa v20, v20, v39 dst_sel:DWORD dst_unused:UNUSED_PAD src0_sel:DWORD src1_sel:WORD_1
	v_fma_f16 v24, v51, v38, -v24
	v_fma_f16 v20, v49, v39, -v20
	v_sub_f16_e32 v38, v48, v31
	v_sub_f16_e32 v39, v28, v53
	v_add_f16_e32 v38, v38, v39
	v_add_f16_e32 v39, v31, v53
	v_fma_f16 v39, v39, -0.5, v17
	v_sub_f16_e32 v40, v0, v3
	v_fma_f16 v41, v40, s4, v39
	v_sub_f16_e32 v42, v1, v2
	v_fma_f16 v39, v40, s7, v39
	v_fma_f16 v41, v42, s5, v41
	;; [unrolled: 1-line block ×5, first 2 shown]
	v_sub_f16_e32 v39, v31, v48
	v_sub_f16_e32 v43, v53, v28
	v_add_f16_e32 v39, v39, v43
	v_add_f16_e32 v43, v48, v28
	v_fma_f16 v43, v43, -0.5, v17
	v_fma_f16 v44, v42, s7, v43
	v_fma_f16 v42, v42, s4, v43
	;; [unrolled: 1-line block ×4, first 2 shown]
	v_add_f16_e32 v17, v17, v48
	v_fma_f16 v42, v39, s6, v43
	v_fma_f16 v39, v39, s6, v40
	v_add_f16_e32 v17, v17, v31
	v_sub_f16_e32 v40, v0, v1
	v_sub_f16_e32 v43, v3, v2
	v_add_f16_e32 v17, v17, v53
	v_add_f16_e32 v40, v40, v43
	;; [unrolled: 1-line block ×4, first 2 shown]
	v_sub_f16_e32 v28, v48, v28
	v_fma_f16 v43, v43, -0.5, v45
	v_sub_f16_e32 v31, v31, v53
	v_fma_f16 v44, v28, s7, v43
	v_fma_f16 v43, v28, s4, v43
	;; [unrolled: 1-line block ×6, first 2 shown]
	v_add_f16_e32 v43, v0, v3
	v_fma_f16 v43, v43, -0.5, v45
	v_add_f16_e32 v45, v45, v0
	v_add_f16_e32 v45, v45, v1
	v_sub_f16_e32 v0, v1, v0
	v_add_f16_e32 v1, v45, v2
	v_add_f16_e32 v45, v1, v3
	v_sub_f16_e32 v1, v2, v3
	v_add_f16_e32 v0, v0, v1
	v_fma_f16 v1, v31, s4, v43
	v_fma_f16 v2, v31, s7, v43
	;; [unrolled: 1-line block ×6, first 2 shown]
	v_sub_f16_e32 v0, v29, v30
	v_sub_f16_e32 v1, v33, v32
	v_add_f16_e32 v0, v0, v1
	v_add_f16_e32 v1, v30, v32
	v_fma_f16 v1, v1, -0.5, v16
	v_sub_f16_e32 v2, v25, v26
	v_fma_f16 v31, v2, s4, v1
	v_sub_f16_e32 v43, v23, v22
	v_fma_f16 v1, v2, s7, v1
	v_fma_f16 v31, v43, s5, v31
	;; [unrolled: 1-line block ×5, first 2 shown]
	v_sub_f16_e32 v0, v30, v29
	v_sub_f16_e32 v48, v32, v33
	v_add_f16_e32 v0, v0, v48
	v_add_f16_e32 v48, v29, v33
	v_fma_f16 v48, v48, -0.5, v16
	v_fma_f16 v49, v43, s7, v48
	v_fma_f16 v43, v43, s4, v48
	;; [unrolled: 1-line block ×6, first 2 shown]
	v_add_f16_e32 v0, v16, v29
	v_add_f16_e32 v0, v0, v30
	;; [unrolled: 1-line block ×4, first 2 shown]
	v_sub_f16_e32 v0, v29, v33
	v_sub_f16_e32 v29, v30, v32
	;; [unrolled: 1-line block ×4, first 2 shown]
	v_add_f16_e32 v30, v30, v32
	v_add_f16_e32 v32, v23, v22
	v_fma_f16 v32, v32, -0.5, v46
	v_fma_f16 v33, v0, s7, v32
	v_fma_f16 v32, v0, s4, v32
	;; [unrolled: 1-line block ×6, first 2 shown]
	v_add_f16_e32 v32, v25, v26
	v_fma_f16 v32, v32, -0.5, v46
	v_add_f16_e32 v46, v46, v25
	v_add_f16_e32 v46, v46, v23
	v_sub_f16_e32 v23, v23, v25
	v_add_f16_e32 v25, v46, v22
	v_sub_f16_e32 v22, v22, v26
	v_add_f16_e32 v46, v25, v26
	v_add_f16_e32 v22, v23, v22
	v_fma_f16 v23, v29, s4, v32
	v_fma_f16 v25, v29, s7, v32
	;; [unrolled: 1-line block ×6, first 2 shown]
	v_sub_f16_e32 v0, v34, v35
	v_sub_f16_e32 v22, v37, v36
	v_add_f16_e32 v0, v0, v22
	v_add_f16_e32 v22, v35, v36
	v_fma_f16 v22, v22, -0.5, v9
	v_sub_f16_e32 v23, v21, v20
	v_fma_f16 v25, v23, s4, v22
	v_sub_f16_e32 v26, v27, v24
	v_fma_f16 v22, v23, s7, v22
	v_fma_f16 v25, v26, s5, v25
	;; [unrolled: 1-line block ×5, first 2 shown]
	v_sub_f16_e32 v0, v35, v34
	v_sub_f16_e32 v48, v36, v37
	v_add_f16_e32 v0, v0, v48
	v_add_f16_e32 v48, v34, v37
	v_fma_f16 v48, v48, -0.5, v9
	v_fma_f16 v49, v26, s7, v48
	v_fma_f16 v26, v26, s4, v48
	;; [unrolled: 1-line block ×6, first 2 shown]
	v_add_f16_e32 v0, v9, v34
	v_add_f16_e32 v0, v0, v35
	;; [unrolled: 1-line block ×4, first 2 shown]
	v_sub_f16_e32 v0, v34, v37
	v_sub_f16_e32 v34, v35, v36
	;; [unrolled: 1-line block ×4, first 2 shown]
	v_add_f16_e32 v35, v35, v36
	v_add_f16_e32 v36, v27, v24
	v_fma_f16 v36, v36, -0.5, v47
	v_fma_f16 v37, v0, s7, v36
	v_fma_f16 v36, v0, s4, v36
	;; [unrolled: 1-line block ×6, first 2 shown]
	v_add_f16_e32 v36, v21, v20
	v_fma_f16 v36, v36, -0.5, v47
	v_add_f16_e32 v47, v47, v21
	v_add_f16_e32 v47, v47, v27
	v_sub_f16_e32 v21, v27, v21
	v_add_f16_e32 v27, v47, v24
	v_add_f16_e32 v47, v27, v20
	v_sub_f16_e32 v20, v24, v20
	v_add_f16_e32 v20, v21, v20
	v_fma_f16 v21, v34, s4, v36
	v_fma_f16 v24, v34, s7, v36
	;; [unrolled: 1-line block ×5, first 2 shown]
	v_mov_b32_e32 v0, 1
	v_lshlrev_b32_sdwa v13, v0, v13 dst_sel:DWORD dst_unused:UNUSED_PAD src0_sel:DWORD src1_sel:BYTE_0
	v_add3_u32 v12, 0, v12, v13
	v_mul_u32_u24_e32 v13, 50, v14
	v_lshlrev_b32_e32 v14, 1, v15
	v_add3_u32 v14, 0, v13, v14
	s_barrier
	ds_write_b16 v12, v17
	ds_write_b16 v12, v41 offset:10
	ds_write_b16 v12, v42 offset:20
	ds_write_b16 v12, v39 offset:30
	ds_write_b16 v12, v38 offset:40
	ds_write_b16 v14, v16
	ds_write_b16 v14, v31 offset:10
	ds_write_b16 v14, v43 offset:20
	ds_write_b16 v14, v2 offset:30
	ds_write_b16 v14, v1 offset:40
	v_mul_u32_u24_e32 v1, 50, v18
	v_lshlrev_b32_e32 v2, 1, v19
	v_add3_u32 v15, 0, v1, v2
	v_fma_f16 v34, v20, s6, v21
	ds_write_b16 v15, v9
	ds_write_b16 v15, v25 offset:10
	ds_write_b16 v15, v26 offset:20
	;; [unrolled: 1-line block ×4, first 2 shown]
	s_waitcnt lgkmcnt(0)
	s_barrier
	ds_read_u16 v13, v5
	ds_read_u16 v2, v5 offset:450
	ds_read_u16 v21, v5 offset:1800
	;; [unrolled: 1-line block ×14, first 2 shown]
	s_waitcnt lgkmcnt(0)
	s_barrier
	ds_write_b16 v12, v45
	ds_write_b16 v12, v44 offset:10
	ds_write_b16 v12, v3 offset:20
	ds_write_b16 v12, v28 offset:30
	ds_write_b16 v12, v40 offset:40
	ds_write_b16 v14, v46
	ds_write_b16 v14, v33 offset:10
	ds_write_b16 v14, v29 offset:20
	ds_write_b16 v14, v32 offset:30
	ds_write_b16 v14, v30 offset:40
	;; [unrolled: 5-line block ×3, first 2 shown]
	v_mov_b32_e32 v3, 41
	v_mul_lo_u16_sdwa v3, v4, v3 dst_sel:DWORD dst_unused:UNUSED_PAD src0_sel:BYTE_0 src1_sel:DWORD
	v_lshrrev_b16_e32 v3, 10, v3
	v_mul_lo_u16_e32 v9, 25, v3
	v_sub_u16_e32 v9, v4, v9
	v_lshlrev_b32_sdwa v8, v8, v9 dst_sel:DWORD dst_unused:UNUSED_PAD src0_sel:DWORD src1_sel:BYTE_0
	s_waitcnt lgkmcnt(0)
	s_barrier
	global_load_dwordx4 v[28:31], v8, s[8:9] offset:80
	v_mul_u32_u24_sdwa v8, v10, s11 dst_sel:DWORD dst_unused:UNUSED_PAD src0_sel:WORD_0 src1_sel:DWORD
	v_sub_u16_sdwa v12, v10, v8 dst_sel:DWORD dst_unused:UNUSED_PAD src0_sel:DWORD src1_sel:WORD_1
	v_lshrrev_b16_e32 v12, 1, v12
	v_add_u16_sdwa v8, v12, v8 dst_sel:DWORD dst_unused:UNUSED_PAD src0_sel:DWORD src1_sel:WORD_1
	v_lshrrev_b16_e32 v8, 4, v8
	v_mul_lo_u16_e32 v12, 25, v8
	v_sub_u16_e32 v12, v10, v12
	v_lshlrev_b32_e32 v14, 4, v12
	global_load_dwordx4 v[32:35], v14, s[8:9] offset:80
	v_mul_u32_u24_sdwa v14, v11, s11 dst_sel:DWORD dst_unused:UNUSED_PAD src0_sel:WORD_0 src1_sel:DWORD
	v_sub_u16_sdwa v15, v11, v14 dst_sel:DWORD dst_unused:UNUSED_PAD src0_sel:DWORD src1_sel:WORD_1
	v_lshrrev_b16_e32 v15, 1, v15
	v_add_u16_sdwa v14, v15, v14 dst_sel:DWORD dst_unused:UNUSED_PAD src0_sel:DWORD src1_sel:WORD_1
	v_lshrrev_b16_e32 v14, 4, v14
	v_mul_lo_u16_e32 v15, 25, v14
	v_sub_u16_e32 v15, v11, v15
	v_lshlrev_b32_e32 v36, 4, v15
	global_load_dwordx4 v[36:39], v36, s[8:9] offset:80
	ds_read_u16 v40, v5 offset:1350
	ds_read_u16 v41, v5 offset:1800
	;; [unrolled: 1-line block ×5, first 2 shown]
	ds_read_u16 v45, v5
	ds_read_u16 v46, v5 offset:450
	ds_read_u16 v47, v5 offset:900
	v_lshlrev_b32_sdwa v0, v0, v9 dst_sel:DWORD dst_unused:UNUSED_PAD src0_sel:DWORD src1_sel:BYTE_0
	v_mul_u32_u24_e32 v3, 0xfa, v3
	v_add3_u32 v0, 0, v3, v0
	v_mul_u32_u24_e32 v3, 0xfa, v8
	v_lshlrev_b32_e32 v8, 1, v12
	s_waitcnt vmcnt(2) lgkmcnt(7)
	v_mul_f16_sdwa v48, v40, v28 dst_sel:DWORD dst_unused:UNUSED_PAD src0_sel:DWORD src1_sel:WORD_1
	v_fma_f16 v48, v27, v28, v48
	v_mul_f16_sdwa v27, v27, v28 dst_sel:DWORD dst_unused:UNUSED_PAD src0_sel:DWORD src1_sel:WORD_1
	v_fma_f16 v27, v40, v28, -v27
	s_waitcnt lgkmcnt(4)
	v_mul_f16_sdwa v28, v43, v29 dst_sel:DWORD dst_unused:UNUSED_PAD src0_sel:DWORD src1_sel:WORD_1
	v_fma_f16 v28, v24, v29, v28
	v_mul_f16_sdwa v24, v24, v29 dst_sel:DWORD dst_unused:UNUSED_PAD src0_sel:DWORD src1_sel:WORD_1
	v_fma_f16 v24, v43, v29, -v24
	ds_read_u16 v29, v5 offset:4050
	ds_read_u16 v40, v5 offset:4500
	;; [unrolled: 1-line block ×7, first 2 shown]
	s_waitcnt lgkmcnt(6)
	v_mul_f16_sdwa v53, v29, v30 dst_sel:DWORD dst_unused:UNUSED_PAD src0_sel:DWORD src1_sel:WORD_1
	v_fma_f16 v53, v26, v30, v53
	v_mul_f16_sdwa v26, v26, v30 dst_sel:DWORD dst_unused:UNUSED_PAD src0_sel:DWORD src1_sel:WORD_1
	v_fma_f16 v26, v29, v30, -v26
	s_waitcnt lgkmcnt(2)
	v_mul_f16_sdwa v29, v50, v31 dst_sel:DWORD dst_unused:UNUSED_PAD src0_sel:DWORD src1_sel:WORD_1
	v_fma_f16 v29, v25, v31, v29
	v_mul_f16_sdwa v25, v25, v31 dst_sel:DWORD dst_unused:UNUSED_PAD src0_sel:DWORD src1_sel:WORD_1
	v_fma_f16 v25, v50, v31, -v25
	s_waitcnt vmcnt(1)
	v_mul_f16_sdwa v30, v41, v32 dst_sel:DWORD dst_unused:UNUSED_PAD src0_sel:DWORD src1_sel:WORD_1
	v_mul_f16_sdwa v31, v42, v33 dst_sel:DWORD dst_unused:UNUSED_PAD src0_sel:DWORD src1_sel:WORD_1
	v_fma_f16 v30, v21, v32, v30
	v_mul_f16_sdwa v21, v21, v32 dst_sel:DWORD dst_unused:UNUSED_PAD src0_sel:DWORD src1_sel:WORD_1
	v_fma_f16 v31, v19, v33, v31
	v_mul_f16_sdwa v19, v19, v33 dst_sel:DWORD dst_unused:UNUSED_PAD src0_sel:DWORD src1_sel:WORD_1
	v_fma_f16 v21, v41, v32, -v21
	v_fma_f16 v19, v42, v33, -v19
	v_mul_f16_sdwa v32, v40, v34 dst_sel:DWORD dst_unused:UNUSED_PAD src0_sel:DWORD src1_sel:WORD_1
	v_mul_f16_sdwa v33, v43, v35 dst_sel:DWORD dst_unused:UNUSED_PAD src0_sel:DWORD src1_sel:WORD_1
	v_fma_f16 v32, v18, v34, v32
	v_mul_f16_sdwa v18, v18, v34 dst_sel:DWORD dst_unused:UNUSED_PAD src0_sel:DWORD src1_sel:WORD_1
	v_fma_f16 v33, v22, v35, v33
	v_mul_f16_sdwa v22, v22, v35 dst_sel:DWORD dst_unused:UNUSED_PAD src0_sel:DWORD src1_sel:WORD_1
	v_fma_f16 v18, v40, v34, -v18
	v_fma_f16 v22, v43, v35, -v22
	s_waitcnt vmcnt(0)
	v_mul_f16_sdwa v34, v44, v36 dst_sel:DWORD dst_unused:UNUSED_PAD src0_sel:DWORD src1_sel:WORD_1
	s_waitcnt lgkmcnt(0)
	v_mul_f16_sdwa v35, v52, v37 dst_sel:DWORD dst_unused:UNUSED_PAD src0_sel:DWORD src1_sel:WORD_1
	v_fma_f16 v34, v17, v36, v34
	v_mul_f16_sdwa v17, v17, v36 dst_sel:DWORD dst_unused:UNUSED_PAD src0_sel:DWORD src1_sel:WORD_1
	v_fma_f16 v35, v23, v37, v35
	v_mul_f16_sdwa v23, v23, v37 dst_sel:DWORD dst_unused:UNUSED_PAD src0_sel:DWORD src1_sel:WORD_1
	v_fma_f16 v17, v44, v36, -v17
	v_fma_f16 v23, v52, v37, -v23
	v_mul_f16_sdwa v36, v51, v38 dst_sel:DWORD dst_unused:UNUSED_PAD src0_sel:DWORD src1_sel:WORD_1
	v_mul_f16_sdwa v37, v49, v39 dst_sel:DWORD dst_unused:UNUSED_PAD src0_sel:DWORD src1_sel:WORD_1
	v_fma_f16 v36, v20, v38, v36
	v_mul_f16_sdwa v20, v20, v38 dst_sel:DWORD dst_unused:UNUSED_PAD src0_sel:DWORD src1_sel:WORD_1
	v_fma_f16 v37, v16, v39, v37
	v_mul_f16_sdwa v16, v16, v39 dst_sel:DWORD dst_unused:UNUSED_PAD src0_sel:DWORD src1_sel:WORD_1
	v_fma_f16 v20, v51, v38, -v20
	v_fma_f16 v16, v49, v39, -v16
	v_sub_f16_e32 v38, v48, v28
	v_sub_f16_e32 v39, v29, v53
	v_add_f16_e32 v38, v38, v39
	v_add_f16_e32 v39, v28, v53
	v_fma_f16 v39, v39, -0.5, v13
	v_sub_f16_e32 v40, v27, v25
	v_fma_f16 v41, v40, s4, v39
	v_sub_f16_e32 v42, v24, v26
	v_fma_f16 v39, v40, s7, v39
	v_fma_f16 v41, v42, s5, v41
	;; [unrolled: 1-line block ×5, first 2 shown]
	v_sub_f16_e32 v39, v28, v48
	v_sub_f16_e32 v43, v53, v29
	v_add_f16_e32 v39, v39, v43
	v_add_f16_e32 v43, v48, v29
	v_fma_f16 v43, v43, -0.5, v13
	v_fma_f16 v44, v42, s7, v43
	v_fma_f16 v42, v42, s4, v43
	;; [unrolled: 1-line block ×4, first 2 shown]
	v_add_f16_e32 v13, v13, v48
	v_fma_f16 v42, v39, s6, v43
	v_fma_f16 v39, v39, s6, v40
	v_add_f16_e32 v13, v13, v28
	v_sub_f16_e32 v40, v27, v24
	v_sub_f16_e32 v43, v25, v26
	v_add_f16_e32 v13, v13, v53
	v_add_f16_e32 v40, v40, v43
	;; [unrolled: 1-line block ×4, first 2 shown]
	v_sub_f16_e32 v29, v48, v29
	v_fma_f16 v43, v43, -0.5, v45
	v_sub_f16_e32 v28, v28, v53
	v_fma_f16 v44, v29, s7, v43
	v_fma_f16 v43, v29, s4, v43
	;; [unrolled: 1-line block ×6, first 2 shown]
	v_add_f16_e32 v43, v27, v25
	v_fma_f16 v43, v43, -0.5, v45
	v_add_f16_e32 v45, v45, v27
	v_add_f16_e32 v45, v45, v24
	v_sub_f16_e32 v24, v24, v27
	v_add_f16_e32 v27, v45, v26
	v_add_f16_e32 v27, v27, v25
	v_sub_f16_e32 v25, v26, v25
	v_add_f16_e32 v24, v24, v25
	v_fma_f16 v25, v28, s4, v43
	v_fma_f16 v26, v28, s7, v43
	;; [unrolled: 1-line block ×6, first 2 shown]
	v_sub_f16_e32 v26, v30, v31
	v_sub_f16_e32 v28, v33, v32
	v_add_f16_e32 v26, v26, v28
	v_add_f16_e32 v28, v31, v32
	v_fma_f16 v28, v28, -0.5, v2
	v_sub_f16_e32 v29, v21, v22
	v_fma_f16 v43, v29, s4, v28
	v_sub_f16_e32 v45, v19, v18
	v_fma_f16 v28, v29, s7, v28
	v_fma_f16 v43, v45, s5, v43
	;; [unrolled: 1-line block ×5, first 2 shown]
	v_sub_f16_e32 v28, v31, v30
	v_sub_f16_e32 v48, v32, v33
	v_add_f16_e32 v28, v28, v48
	v_add_f16_e32 v48, v30, v33
	v_fma_f16 v48, v48, -0.5, v2
	v_fma_f16 v49, v45, s7, v48
	v_fma_f16 v45, v45, s4, v48
	v_add_f16_e32 v2, v2, v30
	v_fma_f16 v48, v29, s5, v49
	v_fma_f16 v29, v29, s10, v45
	v_add_f16_e32 v2, v2, v31
	;; [unrolled: 3-line block ×3, first 2 shown]
	v_sub_f16_e32 v29, v30, v33
	v_sub_f16_e32 v30, v31, v32
	;; [unrolled: 1-line block ×4, first 2 shown]
	v_add_f16_e32 v31, v31, v32
	v_add_f16_e32 v32, v19, v18
	v_fma_f16 v32, v32, -0.5, v46
	v_add_f16_e32 v2, v2, v33
	v_fma_f16 v33, v29, s7, v32
	v_fma_f16 v32, v29, s4, v32
	;; [unrolled: 1-line block ×6, first 2 shown]
	v_add_f16_e32 v32, v21, v22
	v_fma_f16 v32, v32, -0.5, v46
	v_add_f16_e32 v46, v46, v21
	v_add_f16_e32 v46, v46, v19
	v_sub_f16_e32 v19, v19, v21
	v_add_f16_e32 v21, v46, v18
	v_sub_f16_e32 v18, v18, v22
	v_add_f16_e32 v21, v21, v22
	v_add_f16_e32 v18, v19, v18
	v_fma_f16 v19, v30, s4, v32
	v_fma_f16 v22, v30, s7, v32
	v_fma_f16 v19, v29, s10, v19
	v_fma_f16 v22, v29, s5, v22
	v_fma_f16 v19, v18, s6, v19
	v_fma_f16 v18, v18, s6, v22
	v_sub_f16_e32 v22, v34, v35
	v_sub_f16_e32 v29, v37, v36
	v_add_f16_e32 v22, v22, v29
	v_add_f16_e32 v29, v35, v36
	v_fma_f16 v29, v29, -0.5, v1
	v_sub_f16_e32 v30, v17, v16
	v_fma_f16 v32, v30, s4, v29
	v_sub_f16_e32 v46, v23, v20
	v_fma_f16 v29, v30, s7, v29
	v_fma_f16 v32, v46, s5, v32
	;; [unrolled: 1-line block ×5, first 2 shown]
	v_sub_f16_e32 v29, v35, v34
	v_sub_f16_e32 v48, v36, v37
	v_add_f16_e32 v29, v29, v48
	v_add_f16_e32 v48, v34, v37
	v_fma_f16 v48, v48, -0.5, v1
	v_fma_f16 v49, v46, s7, v48
	v_fma_f16 v46, v46, s4, v48
	v_add_f16_e32 v1, v1, v34
	v_fma_f16 v48, v30, s5, v49
	v_fma_f16 v30, v30, s10, v46
	v_add_f16_e32 v1, v1, v35
	;; [unrolled: 3-line block ×3, first 2 shown]
	v_sub_f16_e32 v30, v34, v37
	v_sub_f16_e32 v34, v35, v36
	;; [unrolled: 1-line block ×4, first 2 shown]
	v_add_f16_e32 v35, v35, v36
	v_add_f16_e32 v36, v23, v20
	v_fma_f16 v36, v36, -0.5, v47
	v_add_f16_e32 v1, v1, v37
	v_fma_f16 v37, v30, s7, v36
	v_fma_f16 v36, v30, s4, v36
	;; [unrolled: 1-line block ×6, first 2 shown]
	v_add_f16_e32 v36, v17, v16
	v_fma_f16 v36, v36, -0.5, v47
	v_add_f16_e32 v47, v47, v17
	v_add_f16_e32 v47, v47, v23
	v_sub_f16_e32 v17, v23, v17
	v_add_f16_e32 v23, v47, v20
	v_add_f16_e32 v23, v23, v16
	v_sub_f16_e32 v16, v20, v16
	s_barrier
	ds_write_b16 v0, v13
	ds_write_b16 v0, v41 offset:50
	ds_write_b16 v0, v42 offset:100
	;; [unrolled: 1-line block ×4, first 2 shown]
	v_add3_u32 v13, 0, v3, v8
	v_add_f16_e32 v16, v17, v16
	v_fma_f16 v17, v34, s4, v36
	v_fma_f16 v20, v34, s7, v36
	ds_write_b16 v13, v2
	ds_write_b16 v13, v43 offset:50
	ds_write_b16 v13, v45 offset:100
	ds_write_b16 v13, v28 offset:150
	ds_write_b16 v13, v26 offset:200
	v_mul_u32_u24_e32 v2, 0xfa, v14
	v_lshlrev_b32_e32 v3, 1, v15
	v_lshlrev_b32_e32 v8, 1, v4
	v_fma_f16 v17, v30, s10, v17
	v_fma_f16 v20, v30, s5, v20
	v_add3_u32 v14, 0, v2, v3
	v_add_u32_e32 v12, 0, v8
	s_movk_i32 s4, 0x7d
	v_fma_f16 v17, v16, s6, v17
	v_fma_f16 v16, v16, s6, v20
	ds_write_b16 v14, v1
	ds_write_b16 v14, v32 offset:50
	ds_write_b16 v14, v46 offset:100
	;; [unrolled: 1-line block ×4, first 2 shown]
	s_waitcnt lgkmcnt(0)
	s_barrier
	ds_read_u16 v28, v5
	ds_read_u16 v9, v5 offset:450
	ds_read_u16 v2, v5 offset:900
	;; [unrolled: 1-line block ×14, first 2 shown]
	s_waitcnt lgkmcnt(0)
	s_barrier
	ds_write_b16 v0, v27
	ds_write_b16 v0, v44 offset:50
	ds_write_b16 v0, v25 offset:100
	ds_write_b16 v0, v24 offset:150
	ds_write_b16 v0, v40 offset:200
	ds_write_b16 v13, v21
	ds_write_b16 v13, v33 offset:50
	ds_write_b16 v13, v19 offset:100
	ds_write_b16 v13, v18 offset:150
	ds_write_b16 v13, v31 offset:200
	;; [unrolled: 5-line block ×3, first 2 shown]
	v_add_u32_e32 v0, 0xffffff83, v4
	v_cmp_gt_u32_e32 vcc, s4, v4
	v_cndmask_b32_e32 v0, v0, v4, vcc
	v_lshlrev_b32_e32 v0, 1, v0
	v_mov_b32_e32 v1, 0
	v_lshlrev_b64 v[13:14], 2, v[0:1]
	v_mov_b32_e32 v20, s9
	v_add_co_u32_e32 v13, vcc, s8, v13
	v_addc_co_u32_e32 v14, vcc, v20, v14, vcc
	s_movk_i32 s4, 0x625
	s_waitcnt lgkmcnt(0)
	s_barrier
	global_load_dwordx2 v[16:17], v[13:14], off offset:480
	v_mul_u32_u24_sdwa v13, v10, s4 dst_sel:DWORD dst_unused:UNUSED_PAD src0_sel:WORD_0 src1_sel:DWORD
	v_sub_u16_sdwa v14, v10, v13 dst_sel:DWORD dst_unused:UNUSED_PAD src0_sel:DWORD src1_sel:WORD_1
	v_lshrrev_b16_e32 v14, 1, v14
	v_add_u16_sdwa v13, v14, v13 dst_sel:DWORD dst_unused:UNUSED_PAD src0_sel:DWORD src1_sel:WORD_1
	v_mul_u32_u24_sdwa v14, v11, s4 dst_sel:DWORD dst_unused:UNUSED_PAD src0_sel:WORD_0 src1_sel:DWORD
	v_lshrrev_b16_e32 v27, 6, v13
	v_sub_u16_sdwa v18, v11, v14 dst_sel:DWORD dst_unused:UNUSED_PAD src0_sel:DWORD src1_sel:WORD_1
	v_mul_lo_u16_e32 v13, 0x7d, v27
	v_lshrrev_b16_e32 v18, 1, v18
	v_sub_u16_e32 v31, v10, v13
	v_add_u16_sdwa v14, v18, v14 dst_sel:DWORD dst_unused:UNUSED_PAD src0_sel:DWORD src1_sel:WORD_1
	v_lshlrev_b32_e32 v13, 3, v31
	v_lshrrev_b16_e32 v33, 6, v14
	v_add_u32_e32 v14, 0x2a3, v4
	global_load_dwordx2 v[18:19], v13, s[8:9] offset:480
	v_mul_lo_u16_e32 v13, 0x7d, v33
	v_mul_u32_u24_sdwa v23, v14, s4 dst_sel:DWORD dst_unused:UNUSED_PAD src0_sel:WORD_0 src1_sel:DWORD
	v_sub_u16_e32 v35, v11, v13
	v_sub_u16_sdwa v21, v14, v23 dst_sel:DWORD dst_unused:UNUSED_PAD src0_sel:DWORD src1_sel:WORD_1
	v_lshlrev_b32_e32 v13, 3, v35
	v_lshrrev_b16_e32 v24, 1, v21
	global_load_dwordx2 v[21:22], v13, s[8:9] offset:480
	v_add_u16_sdwa v13, v24, v23 dst_sel:DWORD dst_unused:UNUSED_PAD src0_sel:DWORD src1_sel:WORD_1
	v_lshrrev_b16_e32 v37, 6, v13
	v_mul_lo_u16_e32 v13, 0x7d, v37
	v_sub_u16_e32 v40, v14, v13
	v_lshlrev_b32_e32 v13, 3, v40
	global_load_dwordx2 v[23:24], v13, s[8:9] offset:480
	v_add_u32_e32 v13, 0x384, v4
	v_mul_u32_u24_sdwa v25, v13, s4 dst_sel:DWORD dst_unused:UNUSED_PAD src0_sel:WORD_0 src1_sel:DWORD
	v_sub_u16_sdwa v26, v13, v25 dst_sel:DWORD dst_unused:UNUSED_PAD src0_sel:DWORD src1_sel:WORD_1
	v_lshrrev_b16_e32 v26, 1, v26
	v_add_u16_sdwa v25, v26, v25 dst_sel:DWORD dst_unused:UNUSED_PAD src0_sel:DWORD src1_sel:WORD_1
	v_lshrrev_b16_e32 v44, 6, v25
	v_mul_lo_u16_e32 v25, 0x7d, v44
	v_sub_u16_e32 v45, v13, v25
	v_lshlrev_b32_e32 v25, 3, v45
	global_load_dwordx2 v[25:26], v25, s[8:9] offset:480
	ds_read_u16 v46, v5 offset:2250
	ds_read_u16 v47, v5 offset:2700
	ds_read_u16 v48, v5 offset:3150
	ds_read_u16 v49, v5 offset:3600
	ds_read_u16 v50, v5 offset:1350
	s_mov_b32 s4, 0xbaee
	s_movk_i32 s5, 0x3aee
	s_movk_i32 s6, 0x7c
	v_cmp_lt_u32_e32 vcc, s6, v4
	s_movk_i32 s6, 0x96
	s_movk_i32 s7, 0x177
	s_waitcnt vmcnt(4) lgkmcnt(4)
	v_mul_f16_sdwa v51, v46, v16 dst_sel:DWORD dst_unused:UNUSED_PAD src0_sel:DWORD src1_sel:WORD_1
	v_fma_f16 v51, v34, v16, v51
	v_mul_f16_sdwa v34, v34, v16 dst_sel:DWORD dst_unused:UNUSED_PAD src0_sel:DWORD src1_sel:WORD_1
	v_fma_f16 v16, v46, v16, -v34
	ds_read_u16 v34, v5 offset:4500
	ds_read_u16 v46, v5 offset:4950
	;; [unrolled: 1-line block ×7, first 2 shown]
	s_waitcnt lgkmcnt(6)
	v_mul_f16_sdwa v57, v34, v17 dst_sel:DWORD dst_unused:UNUSED_PAD src0_sel:DWORD src1_sel:WORD_1
	v_fma_f16 v57, v42, v17, v57
	v_mul_f16_sdwa v42, v42, v17 dst_sel:DWORD dst_unused:UNUSED_PAD src0_sel:DWORD src1_sel:WORD_1
	v_fma_f16 v17, v34, v17, -v42
	ds_read_u16 v34, v5
	ds_read_u16 v42, v5 offset:450
	ds_read_u16 v58, v5 offset:900
	s_waitcnt vmcnt(0) lgkmcnt(0)
	s_barrier
	v_mul_f16_sdwa v59, v47, v18 dst_sel:DWORD dst_unused:UNUSED_PAD src0_sel:DWORD src1_sel:WORD_1
	v_fma_f16 v59, v29, v18, v59
	v_mul_f16_sdwa v29, v29, v18 dst_sel:DWORD dst_unused:UNUSED_PAD src0_sel:DWORD src1_sel:WORD_1
	v_fma_f16 v47, v47, v18, -v29
	v_mul_f16_sdwa v18, v46, v19 dst_sel:DWORD dst_unused:UNUSED_PAD src0_sel:DWORD src1_sel:WORD_1
	v_fma_f16 v60, v36, v19, v18
	v_mul_f16_sdwa v18, v36, v19 dst_sel:DWORD dst_unused:UNUSED_PAD src0_sel:DWORD src1_sel:WORD_1
	v_fma_f16 v36, v46, v19, -v18
	;; [unrolled: 4-line block ×8, first 2 shown]
	v_add_f16_e32 v18, v51, v57
	v_fma_f16 v18, v18, -0.5, v28
	v_sub_f16_e32 v19, v16, v17
	v_fma_f16 v21, v19, s4, v18
	v_fma_f16 v18, v19, s5, v18
	v_add_f16_e32 v19, v34, v16
	v_add_f16_e32 v16, v16, v17
	;; [unrolled: 1-line block ×3, first 2 shown]
	v_fma_f16 v16, v16, -0.5, v34
	v_sub_f16_e32 v19, v51, v57
	v_add_f16_e32 v17, v28, v51
	v_fma_f16 v34, v19, s5, v16
	v_fma_f16 v51, v19, s4, v16
	v_add_f16_e32 v16, v59, v60
	v_fma_f16 v16, v16, -0.5, v9
	v_sub_f16_e32 v19, v47, v36
	v_fma_f16 v22, v19, s4, v16
	v_fma_f16 v16, v19, s5, v16
	v_add_f16_e32 v19, v46, v61
	v_fma_f16 v19, v19, -0.5, v2
	v_sub_f16_e32 v23, v48, v38
	v_fma_f16 v24, v23, s4, v19
	v_fma_f16 v19, v23, s5, v19
	v_add_f16_e32 v23, v52, v49
	v_fma_f16 v23, v23, -0.5, v3
	v_sub_f16_e32 v25, v32, v39
	v_fma_f16 v26, v25, s4, v23
	v_fma_f16 v23, v25, s5, v23
	v_add_f16_e32 v25, v53, v56
	v_fma_f16 v25, v25, -0.5, v15
	v_sub_f16_e32 v28, v43, v41
	v_fma_f16 v29, v28, s4, v25
	v_fma_f16 v25, v28, s5, v25
	v_mov_b32_e32 v28, 0x2ee
	v_cndmask_b32_e32 v28, 0, v28, vcc
	v_add_f16_e32 v17, v17, v57
	v_add3_u32 v0, 0, v28, v0
	ds_write_b16 v0, v17
	ds_write_b16 v0, v21 offset:250
	ds_write_b16 v0, v18 offset:500
	v_lshlrev_b32_e32 v17, 1, v31
	v_mul_u32_u24_e32 v18, 0x2ee, v27
	v_add_f16_e32 v9, v9, v59
	v_add3_u32 v31, 0, v18, v17
	v_add_f16_e32 v9, v9, v60
	ds_write_b16 v31, v9
	ds_write_b16 v31, v22 offset:250
	ds_write_b16 v31, v16 offset:500
	v_lshlrev_b32_e32 v9, 1, v35
	v_mul_u32_u24_e32 v16, 0x2ee, v33
	v_add_f16_e32 v2, v2, v46
	v_add3_u32 v9, 0, v16, v9
	v_add_f16_e32 v2, v2, v61
	;; [unrolled: 8-line block ×4, first 2 shown]
	ds_write_b16 v3, v15
	ds_write_b16 v3, v29 offset:250
	ds_write_b16 v3, v25 offset:500
	s_waitcnt lgkmcnt(0)
	s_barrier
	ds_read_u16 v19, v5
	ds_read_u16 v18, v5 offset:450
	ds_read_u16 v17, v5 offset:900
	;; [unrolled: 1-line block ×14, first 2 shown]
	s_waitcnt lgkmcnt(0)
	s_barrier
	ds_write_b16 v0, v54
	ds_write_b16 v0, v34 offset:250
	ds_write_b16 v0, v51 offset:500
	v_add_f16_e32 v0, v42, v47
	v_add_f16_e32 v33, v47, v36
	;; [unrolled: 1-line block ×3, first 2 shown]
	v_fma_f16 v33, v33, -0.5, v42
	v_sub_f16_e32 v34, v59, v60
	v_fma_f16 v35, v34, s5, v33
	v_fma_f16 v33, v34, s4, v33
	ds_write_b16 v31, v0
	ds_write_b16 v31, v35 offset:250
	ds_write_b16 v31, v33 offset:500
	v_add_f16_e32 v0, v58, v48
	v_add_f16_e32 v31, v48, v38
	v_add_f16_e32 v0, v0, v38
	v_fma_f16 v31, v31, -0.5, v58
	v_sub_f16_e32 v33, v46, v61
	v_fma_f16 v34, v33, s5, v31
	v_fma_f16 v31, v33, s4, v31
	ds_write_b16 v9, v0
	ds_write_b16 v9, v34 offset:250
	ds_write_b16 v9, v31 offset:500
	v_add_f16_e32 v9, v32, v39
	v_add_f16_e32 v0, v50, v32
	v_fma_f16 v9, v9, -0.5, v50
	v_sub_f16_e32 v31, v52, v49
	v_add_f16_e32 v33, v43, v41
	v_add_f16_e32 v0, v0, v39
	v_fma_f16 v32, v31, s5, v9
	v_fma_f16 v9, v31, s4, v9
	v_add_f16_e32 v31, v55, v43
	v_fma_f16 v33, v33, -0.5, v55
	v_sub_f16_e32 v34, v53, v56
	v_add_f16_e32 v31, v31, v41
	v_fma_f16 v35, v34, s5, v33
	v_fma_f16 v33, v34, s4, v33
	ds_write_b16 v2, v0
	ds_write_b16 v2, v32 offset:250
	ds_write_b16 v2, v9 offset:500
	ds_write_b16 v3, v31
	ds_write_b16 v3, v35 offset:250
	ds_write_b16 v3, v33 offset:500
	v_mov_b32_e32 v9, v1
	v_lshlrev_b64 v[2:3], 2, v[8:9]
	v_add_u32_e32 v0, 0xffffff6a, v4
	v_add_co_u32_e32 v2, vcc, s8, v2
	v_addc_co_u32_e32 v3, vcc, v20, v3, vcc
	v_cmp_gt_u32_e32 vcc, s6, v4
	v_cndmask_b32_e32 v0, v0, v10, vcc
	v_lshlrev_b32_e32 v0, 1, v0
	v_lshlrev_b64 v[33:34], 2, v[0:1]
	v_add_u32_e32 v8, 0x96, v8
	s_waitcnt lgkmcnt(0)
	s_barrier
	global_load_dwordx2 v[31:32], v[2:3], off offset:1480
	v_add_co_u32_e32 v33, vcc, s8, v33
	v_lshlrev_b64 v[8:9], 2, v[8:9]
	v_addc_co_u32_e32 v34, vcc, v20, v34, vcc
	v_add_co_u32_e32 v8, vcc, s8, v8
	s_movk_i32 s6, 0x5d87
	v_addc_co_u32_e32 v9, vcc, v20, v9, vcc
	global_load_dwordx2 v[8:9], v[8:9], off offset:1480
	v_mul_u32_u24_sdwa v20, v14, s6 dst_sel:DWORD dst_unused:UNUSED_PAD src0_sel:WORD_0 src1_sel:DWORD
	global_load_dwordx2 v[33:34], v[33:34], off offset:1480
	v_sub_u16_sdwa v35, v14, v20 dst_sel:DWORD dst_unused:UNUSED_PAD src0_sel:DWORD src1_sel:WORD_1
	v_lshrrev_b16_e32 v35, 1, v35
	v_add_u16_sdwa v20, v35, v20 dst_sel:DWORD dst_unused:UNUSED_PAD src0_sel:DWORD src1_sel:WORD_1
	v_mul_lo_u16_sdwa v35, v20, s7 dst_sel:DWORD dst_unused:UNUSED_PAD src0_sel:BYTE_1 src1_sel:DWORD
	v_mul_u32_u24_sdwa v37, v13, s6 dst_sel:DWORD dst_unused:UNUSED_PAD src0_sel:WORD_0 src1_sel:DWORD
	v_sub_u16_e32 v39, v14, v35
	v_sub_u16_sdwa v38, v13, v37 dst_sel:DWORD dst_unused:UNUSED_PAD src0_sel:DWORD src1_sel:WORD_1
	v_lshlrev_b32_e32 v35, 3, v39
	v_lshrrev_b16_e32 v38, 1, v38
	global_load_dwordx2 v[35:36], v35, s[8:9] offset:1480
	v_add_u16_sdwa v37, v38, v37 dst_sel:DWORD dst_unused:UNUSED_PAD src0_sel:DWORD src1_sel:WORD_1
	v_mul_lo_u16_sdwa v37, v37, s7 dst_sel:DWORD dst_unused:UNUSED_PAD src0_sel:BYTE_1 src1_sel:DWORD
	v_sub_u16_e32 v40, v13, v37
	v_lshlrev_b32_e32 v37, 3, v40
	global_load_dwordx2 v[37:38], v37, s[8:9] offset:1480
	ds_read_u16 v41, v5 offset:2250
	ds_read_u16 v42, v5 offset:2700
	;; [unrolled: 1-line block ×4, first 2 shown]
	ds_read_u16 v45, v5
	ds_read_u16 v46, v5 offset:450
	ds_read_u16 v47, v5 offset:900
	;; [unrolled: 1-line block ×3, first 2 shown]
	s_movk_i32 s6, 0x95
	v_cmp_lt_u32_e32 vcc, s6, v4
	s_movk_i32 s6, 0x8ca
	s_waitcnt vmcnt(4) lgkmcnt(7)
	v_mul_f16_sdwa v49, v41, v31 dst_sel:DWORD dst_unused:UNUSED_PAD src0_sel:DWORD src1_sel:WORD_1
	v_fma_f16 v49, v30, v31, v49
	v_mul_f16_sdwa v30, v30, v31 dst_sel:DWORD dst_unused:UNUSED_PAD src0_sel:DWORD src1_sel:WORD_1
	v_fma_f16 v30, v41, v31, -v30
	ds_read_u16 v31, v5 offset:4500
	ds_read_u16 v41, v5 offset:4950
	;; [unrolled: 1-line block ×7, first 2 shown]
	s_waitcnt lgkmcnt(6)
	v_mul_f16_sdwa v55, v31, v32 dst_sel:DWORD dst_unused:UNUSED_PAD src0_sel:DWORD src1_sel:WORD_1
	v_fma_f16 v55, v29, v32, v55
	v_mul_f16_sdwa v29, v29, v32 dst_sel:DWORD dst_unused:UNUSED_PAD src0_sel:DWORD src1_sel:WORD_1
	v_fma_f16 v29, v31, v32, -v29
	s_waitcnt vmcnt(0) lgkmcnt(0)
	s_barrier
	v_mul_f16_sdwa v31, v42, v33 dst_sel:DWORD dst_unused:UNUSED_PAD src0_sel:DWORD src1_sel:WORD_1
	v_fma_f16 v31, v27, v33, v31
	v_mul_f16_sdwa v27, v27, v33 dst_sel:DWORD dst_unused:UNUSED_PAD src0_sel:DWORD src1_sel:WORD_1
	v_fma_f16 v27, v42, v33, -v27
	v_mul_f16_sdwa v32, v41, v34 dst_sel:DWORD dst_unused:UNUSED_PAD src0_sel:DWORD src1_sel:WORD_1
	v_mul_f16_sdwa v33, v43, v8 dst_sel:DWORD dst_unused:UNUSED_PAD src0_sel:DWORD src1_sel:WORD_1
	v_fma_f16 v32, v28, v34, v32
	v_mul_f16_sdwa v28, v28, v34 dst_sel:DWORD dst_unused:UNUSED_PAD src0_sel:DWORD src1_sel:WORD_1
	v_fma_f16 v33, v25, v8, v33
	v_mul_f16_sdwa v25, v25, v8 dst_sel:DWORD dst_unused:UNUSED_PAD src0_sel:DWORD src1_sel:WORD_1
	v_fma_f16 v28, v41, v34, -v28
	v_fma_f16 v34, v43, v8, -v25
	v_mul_f16_sdwa v8, v50, v9 dst_sel:DWORD dst_unused:UNUSED_PAD src0_sel:DWORD src1_sel:WORD_1
	v_fma_f16 v41, v26, v9, v8
	v_mul_f16_sdwa v8, v26, v9 dst_sel:DWORD dst_unused:UNUSED_PAD src0_sel:DWORD src1_sel:WORD_1
	v_fma_f16 v42, v50, v9, -v8
	v_mul_f16_sdwa v8, v44, v35 dst_sel:DWORD dst_unused:UNUSED_PAD src0_sel:DWORD src1_sel:WORD_1
	v_fma_f16 v43, v22, v35, v8
	v_mul_f16_sdwa v8, v22, v35 dst_sel:DWORD dst_unused:UNUSED_PAD src0_sel:DWORD src1_sel:WORD_1
	;; [unrolled: 4-line block ×5, first 2 shown]
	v_fma_f16 v38, v52, v38, -v8
	v_add_f16_e32 v8, v49, v55
	v_fma_f16 v8, v8, -0.5, v19
	v_sub_f16_e32 v9, v30, v29
	v_fma_f16 v21, v9, s4, v8
	v_fma_f16 v8, v9, s5, v8
	v_add_f16_e32 v9, v45, v30
	v_add_f16_e32 v52, v9, v29
	;; [unrolled: 1-line block ×3, first 2 shown]
	v_fma_f16 v9, v9, -0.5, v45
	v_sub_f16_e32 v22, v49, v55
	v_fma_f16 v29, v22, s5, v9
	v_fma_f16 v30, v22, s4, v9
	v_add_f16_e32 v9, v31, v32
	v_fma_f16 v9, v9, -0.5, v18
	v_sub_f16_e32 v22, v27, v28
	v_fma_f16 v23, v22, s4, v9
	v_fma_f16 v9, v22, s5, v9
	v_add_f16_e32 v22, v46, v27
	v_add_f16_e32 v45, v22, v28
	v_add_f16_e32 v22, v27, v28
	v_add_f16_e32 v19, v19, v49
	v_fma_f16 v22, v22, -0.5, v46
	v_sub_f16_e32 v24, v31, v32
	v_add_f16_e32 v19, v19, v55
	v_add_f16_e32 v18, v18, v31
	v_fma_f16 v28, v24, s5, v22
	v_fma_f16 v31, v24, s4, v22
	v_add_f16_e32 v22, v33, v41
	v_fma_f16 v22, v22, -0.5, v17
	v_sub_f16_e32 v24, v34, v42
	ds_write_b16 v5, v19
	ds_write_b16 v5, v21 offset:750
	ds_write_b16 v5, v8 offset:1500
	v_mov_b32_e32 v8, 0x8ca
	v_fma_f16 v25, v24, s4, v22
	v_fma_f16 v22, v24, s5, v22
	v_add_f16_e32 v24, v43, v44
	v_cndmask_b32_e32 v8, 0, v8, vcc
	v_fma_f16 v24, v24, -0.5, v16
	v_sub_f16_e32 v26, v35, v36
	v_add3_u32 v0, 0, v8, v0
	v_add_f16_e32 v8, v17, v33
	v_add_f16_e32 v18, v18, v32
	v_fma_f16 v27, v26, s4, v24
	v_fma_f16 v24, v26, s5, v24
	v_add_f16_e32 v26, v50, v51
	v_add_f16_e32 v8, v8, v41
	v_fma_f16 v26, v26, -0.5, v15
	v_sub_f16_e32 v32, v37, v38
	ds_write_b16 v0, v18
	ds_write_b16 v0, v23 offset:750
	ds_write_b16 v0, v9 offset:1500
	;; [unrolled: 1-line block ×5, first 2 shown]
	v_lshlrev_b32_e32 v8, 1, v39
	v_mul_u32_u24_sdwa v9, v20, s6 dst_sel:DWORD dst_unused:UNUSED_PAD src0_sel:BYTE_1 src1_sel:DWORD
	v_fma_f16 v46, v32, s4, v26
	v_fma_f16 v26, v32, s5, v26
	v_add3_u32 v32, 0, v9, v8
	v_add_f16_e32 v8, v16, v43
	v_add_f16_e32 v8, v8, v44
	ds_write_b16 v32, v8
	ds_write_b16 v32, v27 offset:750
	ds_write_b16 v32, v24 offset:1500
	v_add_f16_e32 v8, v15, v50
	v_add_f16_e32 v8, v8, v51
	v_lshl_add_u32 v39, v40, 1, 0
	ds_write_b16 v39, v8 offset:4500
	ds_write_b16 v39, v46 offset:5250
	;; [unrolled: 1-line block ×3, first 2 shown]
	s_waitcnt lgkmcnt(0)
	s_barrier
	ds_read_u16 v8, v5
	ds_read_u16 v9, v5 offset:450
	ds_read_u16 v19, v5 offset:900
	;; [unrolled: 1-line block ×14, first 2 shown]
	s_waitcnt lgkmcnt(0)
	s_barrier
	ds_write_b16 v5, v52
	ds_write_b16 v5, v29 offset:750
	ds_write_b16 v5, v30 offset:1500
	ds_write_b16 v0, v45
	ds_write_b16 v0, v28 offset:750
	ds_write_b16 v0, v31 offset:1500
	v_add_f16_e32 v28, v34, v42
	v_fma_f16 v28, v28, -0.5, v47
	v_sub_f16_e32 v29, v33, v41
	v_add_f16_e32 v31, v35, v36
	v_add_f16_e32 v0, v47, v34
	v_fma_f16 v30, v29, s5, v28
	v_fma_f16 v28, v29, s4, v28
	v_add_f16_e32 v29, v48, v35
	v_fma_f16 v31, v31, -0.5, v48
	v_sub_f16_e32 v33, v43, v44
	v_add_f16_e32 v35, v37, v38
	v_add_f16_e32 v0, v0, v42
	;; [unrolled: 1-line block ×3, first 2 shown]
	v_fma_f16 v34, v33, s5, v31
	v_fma_f16 v31, v33, s4, v31
	v_add_f16_e32 v33, v53, v37
	v_fma_f16 v35, v35, -0.5, v53
	v_sub_f16_e32 v36, v50, v51
	v_add_f16_e32 v33, v33, v38
	v_fma_f16 v37, v36, s5, v35
	v_fma_f16 v35, v36, s4, v35
	ds_write_b16 v12, v0 offset:2400
	ds_write_b16 v12, v30 offset:3150
	;; [unrolled: 1-line block ×3, first 2 shown]
	ds_write_b16 v32, v29
	ds_write_b16 v32, v34 offset:750
	ds_write_b16 v32, v31 offset:1500
	;; [unrolled: 1-line block ×5, first 2 shown]
	s_waitcnt lgkmcnt(0)
	s_barrier
	s_and_saveexec_b64 s[6:7], s[0:1]
	s_cbranch_execz .LBB0_13
; %bb.12:
	v_lshlrev_b32_e32 v0, 1, v13
	v_lshlrev_b64 v[28:29], 2, v[0:1]
	v_mov_b32_e32 v34, s9
	v_add_co_u32_e32 v0, vcc, s8, v28
	v_addc_co_u32_e32 v29, vcc, v34, v29, vcc
	v_add_co_u32_e32 v28, vcc, 0x1000, v0
	v_lshlrev_b32_e32 v0, 1, v14
	v_lshlrev_b64 v[30:31], 2, v[0:1]
	v_addc_co_u32_e32 v29, vcc, 0, v29, vcc
	v_add_co_u32_e32 v0, vcc, s8, v30
	s_movk_i32 s0, 0x1000
	v_addc_co_u32_e32 v14, vcc, v34, v31, vcc
	global_load_dwordx2 v[28:29], v[28:29], off offset:384
	v_add_co_u32_e32 v30, vcc, s0, v0
	v_lshlrev_b32_e32 v0, 1, v11
	v_addc_co_u32_e32 v31, vcc, 0, v14, vcc
	global_load_dwordx2 v[30:31], v[30:31], off offset:384
	v_lshlrev_b64 v[32:33], 2, v[0:1]
	v_add_co_u32_e32 v0, vcc, s8, v32
	v_addc_co_u32_e32 v11, vcc, v34, v33, vcc
	v_add_co_u32_e32 v32, vcc, s0, v0
	v_addc_co_u32_e32 v33, vcc, 0, v11, vcc
	global_load_dwordx2 v[32:33], v[32:33], off offset:384
	v_lshlrev_b32_e32 v0, 1, v10
	v_lshlrev_b64 v[10:11], 2, v[0:1]
	ds_read_u16 v14, v5 offset:4050
	ds_read_u16 v35, v5 offset:3600
	;; [unrolled: 1-line block ×5, first 2 shown]
	v_add_co_u32_e32 v0, vcc, s8, v10
	v_addc_co_u32_e32 v11, vcc, v34, v11, vcc
	v_add_co_u32_e32 v10, vcc, s0, v0
	v_addc_co_u32_e32 v11, vcc, 0, v11, vcc
	global_load_dwordx2 v[10:11], v[10:11], off offset:384
	v_add_co_u32_e32 v2, vcc, s0, v2
	v_addc_co_u32_e32 v3, vcc, 0, v3, vcc
	ds_read_u16 v0, v12 offset:1800
	ds_read_u16 v12, v5 offset:6300
	;; [unrolled: 1-line block ×6, first 2 shown]
	global_load_dwordx2 v[2:3], v[2:3], off offset:384
	v_add_co_u32_e32 v6, vcc, s2, v6
	s_waitcnt vmcnt(4)
	v_mul_f16_sdwa v42, v27, v28 dst_sel:DWORD dst_unused:UNUSED_PAD src0_sel:DWORD src1_sel:WORD_1
	v_mul_f16_sdwa v43, v26, v29 dst_sel:DWORD dst_unused:UNUSED_PAD src0_sel:DWORD src1_sel:WORD_1
	s_waitcnt lgkmcnt(10)
	v_mul_f16_sdwa v44, v14, v28 dst_sel:DWORD dst_unused:UNUSED_PAD src0_sel:DWORD src1_sel:WORD_1
	s_waitcnt lgkmcnt(4)
	v_mul_f16_sdwa v45, v12, v29 dst_sel:DWORD dst_unused:UNUSED_PAD src0_sel:DWORD src1_sel:WORD_1
	v_fma_f16 v14, v14, v28, -v42
	v_fma_f16 v12, v12, v29, -v43
	s_waitcnt vmcnt(3)
	v_mul_f16_sdwa v46, v23, v30 dst_sel:DWORD dst_unused:UNUSED_PAD src0_sel:DWORD src1_sel:WORD_1
	v_add_f16_e32 v42, v14, v12
	v_fma_f16 v27, v27, v28, v44
	v_fma_f16 v28, v35, v30, -v46
	v_add_f16_e32 v44, v0, v14
	v_fma_f16 v0, v42, -0.5, v0
	ds_read_u16 v42, v5 offset:1350
	v_mul_f16_sdwa v35, v35, v30 dst_sel:DWORD dst_unused:UNUSED_PAD src0_sel:DWORD src1_sel:WORD_1
	v_fma_f16 v26, v26, v29, v45
	v_fma_f16 v23, v23, v30, v35
	s_waitcnt lgkmcnt(4)
	v_mul_f16_sdwa v30, v34, v31 dst_sel:DWORD dst_unused:UNUSED_PAD src0_sel:DWORD src1_sel:WORD_1
	v_mul_f16_sdwa v47, v24, v31 dst_sel:DWORD dst_unused:UNUSED_PAD src0_sel:DWORD src1_sel:WORD_1
	v_sub_f16_e32 v43, v27, v26
	v_add_f16_e32 v45, v27, v26
	v_add_f16_e32 v27, v25, v27
	v_fma_f16 v24, v24, v31, v30
	v_fma_f16 v29, v34, v31, -v47
	v_add_f16_e32 v26, v27, v26
	v_fma_f16 v27, v43, s4, v0
	v_fma_f16 v43, v43, s5, v0
	ds_read_u16 v0, v5 offset:900
	ds_read_u16 v35, v5 offset:450
	v_add_f16_e32 v34, v23, v24
	v_sub_f16_e32 v14, v14, v12
	v_add_f16_e32 v46, v28, v29
	v_fma_f16 v25, v45, -0.5, v25
	v_sub_f16_e32 v30, v23, v24
	v_fma_f16 v34, v34, -0.5, v22
	v_add_f16_e32 v22, v22, v23
	s_waitcnt vmcnt(2)
	v_mul_f16_sdwa v23, v20, v32 dst_sel:DWORD dst_unused:UNUSED_PAD src0_sel:DWORD src1_sel:WORD_1
	v_add_f16_e32 v12, v44, v12
	v_fma_f16 v44, v14, s5, v25
	v_fma_f16 v14, v14, s4, v25
	s_waitcnt lgkmcnt(2)
	v_fma_f16 v25, v46, -0.5, v42
	v_add_f16_e32 v22, v22, v24
	v_fma_f16 v23, v36, v32, -v23
	v_mul_f16_sdwa v24, v21, v33 dst_sel:DWORD dst_unused:UNUSED_PAD src0_sel:DWORD src1_sel:WORD_1
	v_mul_f16_sdwa v36, v36, v32 dst_sel:DWORD dst_unused:UNUSED_PAD src0_sel:DWORD src1_sel:WORD_1
	v_fma_f16 v31, v30, s4, v25
	v_fma_f16 v25, v30, s5, v25
	v_add_f16_e32 v30, v42, v28
	v_sub_f16_e32 v28, v28, v29
	v_fma_f16 v24, v39, v33, -v24
	v_fma_f16 v20, v20, v32, v36
	v_mul_f16_sdwa v32, v39, v33 dst_sel:DWORD dst_unused:UNUSED_PAD src0_sel:DWORD src1_sel:WORD_1
	v_add_f16_e32 v30, v30, v29
	v_fma_f16 v29, v28, s5, v34
	v_fma_f16 v28, v28, s4, v34
	v_add_f16_e32 v34, v23, v24
	v_fma_f16 v21, v21, v33, v32
	s_waitcnt lgkmcnt(1)
	v_fma_f16 v34, v34, -0.5, v0
	v_sub_f16_e32 v32, v20, v21
	v_fma_f16 v33, v32, s4, v34
	v_fma_f16 v32, v32, s5, v34
	v_add_f16_e32 v34, v20, v21
	v_fma_f16 v34, v34, -0.5, v19
	v_add_f16_e32 v19, v19, v20
	v_add_f16_e32 v19, v19, v21
	s_waitcnt vmcnt(1)
	v_mul_f16_sdwa v20, v17, v10 dst_sel:DWORD dst_unused:UNUSED_PAD src0_sel:DWORD src1_sel:WORD_1
	v_mul_f16_sdwa v21, v18, v11 dst_sel:DWORD dst_unused:UNUSED_PAD src0_sel:DWORD src1_sel:WORD_1
	;; [unrolled: 1-line block ×3, first 2 shown]
	v_add_f16_e32 v0, v0, v23
	v_sub_f16_e32 v23, v23, v24
	v_fma_f16 v20, v37, v10, -v20
	v_fma_f16 v21, v40, v11, -v21
	v_fma_f16 v10, v17, v10, v36
	v_mul_f16_sdwa v17, v40, v11 dst_sel:DWORD dst_unused:UNUSED_PAD src0_sel:DWORD src1_sel:WORD_1
	v_add_f16_e32 v0, v0, v24
	v_fma_f16 v24, v23, s5, v34
	v_fma_f16 v23, v23, s4, v34
	v_add_f16_e32 v34, v20, v21
	v_fma_f16 v11, v18, v11, v17
	s_waitcnt lgkmcnt(0)
	v_fma_f16 v34, v34, -0.5, v35
	v_sub_f16_e32 v17, v10, v11
	ds_read_u16 v5, v5
	v_fma_f16 v18, v17, s4, v34
	v_fma_f16 v17, v17, s5, v34
	v_add_f16_e32 v34, v35, v20
	v_add_f16_e32 v35, v10, v11
	v_fma_f16 v35, v35, -0.5, v9
	v_add_f16_e32 v9, v9, v10
	v_add_f16_e32 v9, v9, v11
	s_waitcnt vmcnt(0)
	v_mul_f16_sdwa v10, v15, v2 dst_sel:DWORD dst_unused:UNUSED_PAD src0_sel:DWORD src1_sel:WORD_1
	v_mul_f16_sdwa v11, v16, v3 dst_sel:DWORD dst_unused:UNUSED_PAD src0_sel:DWORD src1_sel:WORD_1
	;; [unrolled: 1-line block ×3, first 2 shown]
	v_sub_f16_e32 v20, v20, v21
	v_fma_f16 v10, v38, v2, -v10
	v_fma_f16 v11, v41, v3, -v11
	v_fma_f16 v2, v15, v2, v36
	v_mul_f16_sdwa v15, v41, v3 dst_sel:DWORD dst_unused:UNUSED_PAD src0_sel:DWORD src1_sel:WORD_1
	v_add_f16_e32 v34, v34, v21
	v_fma_f16 v21, v20, s5, v35
	v_fma_f16 v20, v20, s4, v35
	v_add_f16_e32 v35, v10, v11
	v_fma_f16 v3, v16, v3, v15
	s_waitcnt lgkmcnt(0)
	v_fma_f16 v35, v35, -0.5, v5
	v_sub_f16_e32 v15, v2, v3
	v_add_f16_e32 v5, v5, v10
	v_fma_f16 v16, v15, s4, v35
	v_fma_f16 v15, v15, s5, v35
	v_add_f16_e32 v35, v5, v11
	v_add_f16_e32 v5, v2, v3
	v_fma_f16 v5, v5, -0.5, v8
	v_sub_f16_e32 v10, v10, v11
	v_add_f16_e32 v2, v8, v2
	v_fma_f16 v11, v10, s5, v5
	v_fma_f16 v10, v10, s4, v5
	v_add_f16_e32 v8, v2, v3
	v_mov_b32_e32 v5, v1
	v_mov_b32_e32 v2, s3
	v_addc_co_u32_e32 v7, vcc, v2, v7, vcc
	v_lshlrev_b64 v[2:3], 2, v[4:5]
	v_pack_b32_f16 v4, v8, v35
	v_add_co_u32_e32 v2, vcc, v6, v2
	v_addc_co_u32_e32 v3, vcc, v7, v3, vcc
	global_store_dword v[2:3], v4, off
	v_add_co_u32_e32 v4, vcc, s0, v2
	v_pack_b32_f16 v6, v10, v15
	v_addc_co_u32_e32 v5, vcc, 0, v3, vcc
	s_movk_i32 s0, 0x2000
	global_store_dword v[4:5], v6, off offset:404
	v_add_co_u32_e32 v6, vcc, s0, v2
	v_pack_b32_f16 v8, v11, v16
	v_addc_co_u32_e32 v7, vcc, 0, v3, vcc
	global_store_dword v[6:7], v8, off offset:808
	v_pack_b32_f16 v8, v9, v34
	global_store_dword v[2:3], v8, off offset:900
	v_pack_b32_f16 v8, v20, v17
	v_pack_b32_f16 v0, v19, v0
	global_store_dword v[4:5], v8, off offset:1304
	v_pack_b32_f16 v8, v21, v18
	global_store_dword v[2:3], v0, off offset:1800
	v_pack_b32_f16 v0, v23, v32
	s_mov_b32 s0, 0xe90452d5
	global_store_dword v[6:7], v8, off offset:1708
	global_store_dword v[4:5], v0, off offset:2204
	v_pack_b32_f16 v0, v24, v33
	v_mul_hi_u32 v8, v13, s0
	global_store_dword v[6:7], v0, off offset:2608
	v_pack_b32_f16 v0, v22, v30
	global_store_dword v[2:3], v0, off offset:2700
	v_pack_b32_f16 v0, v28, v25
	global_store_dword v[4:5], v0, off offset:3104
	v_pack_b32_f16 v0, v29, v31
	global_store_dword v[6:7], v0, off offset:3508
	v_lshrrev_b32_e32 v0, 10, v8
	v_mul_u32_u24_e32 v0, 0x8ca, v0
	v_lshlrev_b64 v[0:1], 2, v[0:1]
	v_pack_b32_f16 v4, v14, v43
	v_add_co_u32_e32 v0, vcc, v2, v0
	v_addc_co_u32_e32 v1, vcc, v3, v1, vcc
	v_pack_b32_f16 v2, v26, v12
	global_store_dword v[0:1], v2, off offset:3600
	v_add_co_u32_e32 v2, vcc, 0x1000, v0
	v_addc_co_u32_e32 v3, vcc, 0, v1, vcc
	v_add_co_u32_e32 v0, vcc, 0x3000, v0
	global_store_dword v[2:3], v4, off offset:4004
	v_pack_b32_f16 v2, v44, v27
	v_addc_co_u32_e32 v1, vcc, 0, v1, vcc
	global_store_dword v[0:1], v2, off offset:312
.LBB0_13:
	s_endpgm
	.section	.rodata,"a",@progbits
	.p2align	6, 0x0
	.amdhsa_kernel fft_rtc_back_len3375_factors_5_5_5_3_3_3_wgs_225_tpt_225_halfLds_half_ip_CI_unitstride_sbrr_dirReg
		.amdhsa_group_segment_fixed_size 0
		.amdhsa_private_segment_fixed_size 0
		.amdhsa_kernarg_size 88
		.amdhsa_user_sgpr_count 6
		.amdhsa_user_sgpr_private_segment_buffer 1
		.amdhsa_user_sgpr_dispatch_ptr 0
		.amdhsa_user_sgpr_queue_ptr 0
		.amdhsa_user_sgpr_kernarg_segment_ptr 1
		.amdhsa_user_sgpr_dispatch_id 0
		.amdhsa_user_sgpr_flat_scratch_init 0
		.amdhsa_user_sgpr_private_segment_size 0
		.amdhsa_uses_dynamic_stack 0
		.amdhsa_system_sgpr_private_segment_wavefront_offset 0
		.amdhsa_system_sgpr_workgroup_id_x 1
		.amdhsa_system_sgpr_workgroup_id_y 0
		.amdhsa_system_sgpr_workgroup_id_z 0
		.amdhsa_system_sgpr_workgroup_info 0
		.amdhsa_system_vgpr_workitem_id 0
		.amdhsa_next_free_vgpr 62
		.amdhsa_next_free_sgpr 22
		.amdhsa_reserve_vcc 1
		.amdhsa_reserve_flat_scratch 0
		.amdhsa_float_round_mode_32 0
		.amdhsa_float_round_mode_16_64 0
		.amdhsa_float_denorm_mode_32 3
		.amdhsa_float_denorm_mode_16_64 3
		.amdhsa_dx10_clamp 1
		.amdhsa_ieee_mode 1
		.amdhsa_fp16_overflow 0
		.amdhsa_exception_fp_ieee_invalid_op 0
		.amdhsa_exception_fp_denorm_src 0
		.amdhsa_exception_fp_ieee_div_zero 0
		.amdhsa_exception_fp_ieee_overflow 0
		.amdhsa_exception_fp_ieee_underflow 0
		.amdhsa_exception_fp_ieee_inexact 0
		.amdhsa_exception_int_div_zero 0
	.end_amdhsa_kernel
	.text
.Lfunc_end0:
	.size	fft_rtc_back_len3375_factors_5_5_5_3_3_3_wgs_225_tpt_225_halfLds_half_ip_CI_unitstride_sbrr_dirReg, .Lfunc_end0-fft_rtc_back_len3375_factors_5_5_5_3_3_3_wgs_225_tpt_225_halfLds_half_ip_CI_unitstride_sbrr_dirReg
                                        ; -- End function
	.section	.AMDGPU.csdata,"",@progbits
; Kernel info:
; codeLenInByte = 11696
; NumSgprs: 26
; NumVgprs: 62
; ScratchSize: 0
; MemoryBound: 0
; FloatMode: 240
; IeeeMode: 1
; LDSByteSize: 0 bytes/workgroup (compile time only)
; SGPRBlocks: 3
; VGPRBlocks: 15
; NumSGPRsForWavesPerEU: 26
; NumVGPRsForWavesPerEU: 62
; Occupancy: 4
; WaveLimiterHint : 1
; COMPUTE_PGM_RSRC2:SCRATCH_EN: 0
; COMPUTE_PGM_RSRC2:USER_SGPR: 6
; COMPUTE_PGM_RSRC2:TRAP_HANDLER: 0
; COMPUTE_PGM_RSRC2:TGID_X_EN: 1
; COMPUTE_PGM_RSRC2:TGID_Y_EN: 0
; COMPUTE_PGM_RSRC2:TGID_Z_EN: 0
; COMPUTE_PGM_RSRC2:TIDIG_COMP_CNT: 0
	.type	__hip_cuid_fe3d1a5ffd3a8054,@object ; @__hip_cuid_fe3d1a5ffd3a8054
	.section	.bss,"aw",@nobits
	.globl	__hip_cuid_fe3d1a5ffd3a8054
__hip_cuid_fe3d1a5ffd3a8054:
	.byte	0                               ; 0x0
	.size	__hip_cuid_fe3d1a5ffd3a8054, 1

	.ident	"AMD clang version 19.0.0git (https://github.com/RadeonOpenCompute/llvm-project roc-6.4.0 25133 c7fe45cf4b819c5991fe208aaa96edf142730f1d)"
	.section	".note.GNU-stack","",@progbits
	.addrsig
	.addrsig_sym __hip_cuid_fe3d1a5ffd3a8054
	.amdgpu_metadata
---
amdhsa.kernels:
  - .args:
      - .actual_access:  read_only
        .address_space:  global
        .offset:         0
        .size:           8
        .value_kind:     global_buffer
      - .offset:         8
        .size:           8
        .value_kind:     by_value
      - .actual_access:  read_only
        .address_space:  global
        .offset:         16
        .size:           8
        .value_kind:     global_buffer
      - .actual_access:  read_only
        .address_space:  global
        .offset:         24
        .size:           8
        .value_kind:     global_buffer
      - .offset:         32
        .size:           8
        .value_kind:     by_value
      - .actual_access:  read_only
        .address_space:  global
        .offset:         40
        .size:           8
        .value_kind:     global_buffer
      - .actual_access:  read_only
        .address_space:  global
        .offset:         48
        .size:           8
        .value_kind:     global_buffer
      - .offset:         56
        .size:           4
        .value_kind:     by_value
      - .actual_access:  read_only
        .address_space:  global
        .offset:         64
        .size:           8
        .value_kind:     global_buffer
      - .actual_access:  read_only
        .address_space:  global
        .offset:         72
        .size:           8
        .value_kind:     global_buffer
      - .address_space:  global
        .offset:         80
        .size:           8
        .value_kind:     global_buffer
    .group_segment_fixed_size: 0
    .kernarg_segment_align: 8
    .kernarg_segment_size: 88
    .language:       OpenCL C
    .language_version:
      - 2
      - 0
    .max_flat_workgroup_size: 225
    .name:           fft_rtc_back_len3375_factors_5_5_5_3_3_3_wgs_225_tpt_225_halfLds_half_ip_CI_unitstride_sbrr_dirReg
    .private_segment_fixed_size: 0
    .sgpr_count:     26
    .sgpr_spill_count: 0
    .symbol:         fft_rtc_back_len3375_factors_5_5_5_3_3_3_wgs_225_tpt_225_halfLds_half_ip_CI_unitstride_sbrr_dirReg.kd
    .uniform_work_group_size: 1
    .uses_dynamic_stack: false
    .vgpr_count:     62
    .vgpr_spill_count: 0
    .wavefront_size: 64
amdhsa.target:   amdgcn-amd-amdhsa--gfx906
amdhsa.version:
  - 1
  - 2
...

	.end_amdgpu_metadata
